;; amdgpu-corpus repo=zjin-lcf/HeCBench kind=compiled arch=gfx950 opt=O3
	.amdgcn_target "amdgcn-amd-amdhsa--gfx950"
	.amdhsa_code_object_version 6
	.section	.text._Z30fast_hadamard_transform_kernelI37fast_hadamard_transform_kernel_traitsILi1ELi3EfEEv18HadamardParamsBase,"axG",@progbits,_Z30fast_hadamard_transform_kernelI37fast_hadamard_transform_kernel_traitsILi1ELi3EfEEv18HadamardParamsBase,comdat
	.protected	_Z30fast_hadamard_transform_kernelI37fast_hadamard_transform_kernel_traitsILi1ELi3EfEEv18HadamardParamsBase ; -- Begin function _Z30fast_hadamard_transform_kernelI37fast_hadamard_transform_kernel_traitsILi1ELi3EfEEv18HadamardParamsBase
	.globl	_Z30fast_hadamard_transform_kernelI37fast_hadamard_transform_kernel_traitsILi1ELi3EfEEv18HadamardParamsBase
	.p2align	8
	.type	_Z30fast_hadamard_transform_kernelI37fast_hadamard_transform_kernel_traitsILi1ELi3EfEEv18HadamardParamsBase,@function
_Z30fast_hadamard_transform_kernelI37fast_hadamard_transform_kernel_traitsILi1ELi3EfEEv18HadamardParamsBase: ; @_Z30fast_hadamard_transform_kernelI37fast_hadamard_transform_kernel_traitsILi1ELi3EfEEv18HadamardParamsBase
; %bb.0:
	s_load_dwordx4 s[8:11], s[0:1], 0x10
	s_load_dword s16, s[0:1], 0x4
	s_load_dwordx4 s[4:7], s[0:1], 0x28
	s_ashr_i32 s3, s2, 31
	s_mov_b32 s20, 0
	s_waitcnt lgkmcnt(0)
	s_mul_hi_u32 s12, s8, s2
	s_mul_i32 s13, s8, s3
	s_add_i32 s12, s12, s13
	s_mul_i32 s9, s9, s2
	s_add_i32 s9, s12, s9
	s_mul_i32 s8, s8, s2
	s_lshl_b64 s[12:13], s[8:9], 2
	s_load_dword s8, s[0:1], 0x44
	s_add_u32 s18, s4, s12
	s_addc_u32 s19, s5, s13
	s_cmp_lg_u32 s16, 0
	s_cselect_b64 s[4:5], -1, 0
	s_cmp_eq_u32 s16, 0
	s_mov_b32 s24, 0
	s_mov_b32 s25, 0
	;; [unrolled: 1-line block ×6, first 2 shown]
	s_cbranch_scc1 .LBB0_2
; %bb.1:
	s_load_dwordx4 s[12:15], s[18:19], 0x0
	s_waitcnt lgkmcnt(0)
	s_mov_b32 s24, s13
	s_mov_b32 s25, s14
	;; [unrolled: 1-line block ×5, first 2 shown]
.LBB0_2:
	s_load_dword s0, s[0:1], 0x20
	s_waitcnt lgkmcnt(0)
	s_and_b32 s26, 0xffff, s8
	s_lshl_b32 s1, s26, 2
	s_cmp_lt_u32 s1, s16
	s_cselect_b64 s[8:9], -1, 0
	s_cmp_ge_u32 s1, s16
	s_mov_b32 s21, 0
	s_mov_b32 s15, 0
	;; [unrolled: 1-line block ×5, first 2 shown]
	s_cbranch_scc1 .LBB0_4
; %bb.3:
	s_lshl_b32 s1, s26, 4
	s_load_dwordx4 s[16:19], s[18:19], s1 offset:0x0
	s_waitcnt lgkmcnt(0)
	s_mov_b32 s20, s17
	s_mov_b32 s21, s18
	;; [unrolled: 1-line block ×5, first 2 shown]
.LBB0_4:
	s_mov_b32 s18, s23
	s_mov_b32 s19, s12
	v_mov_b64_e32 v[0:1], s[18:19]
	s_mov_b32 s28, s15
	s_mov_b32 s29, s16
	v_pk_add_f32 v[4:5], s[24:25], v[0:1]
	v_pk_add_f32 v[6:7], s[24:25], v[0:1] neg_lo:[0,1] neg_hi:[0,1]
	v_mov_b64_e32 v[0:1], s[12:13]
	v_pk_add_f32 v[8:9], s[22:23], v[0:1]
	v_pk_add_f32 v[10:11], s[22:23], v[0:1] neg_lo:[0,1] neg_hi:[0,1]
	v_mov_b64_e32 v[0:1], s[28:29]
	s_mul_i32 s1, s10, s3
	s_mul_hi_u32 s3, s10, s2
	v_pk_add_f32 v[12:13], s[20:21], v[0:1]
	v_pk_add_f32 v[14:15], s[20:21], v[0:1] neg_lo:[0,1] neg_hi:[0,1]
	v_mov_b64_e32 v[0:1], s[16:17]
	s_add_i32 s1, s3, s1
	s_mul_i32 s3, s11, s2
	v_pk_add_f32 v[16:17], s[14:15], v[0:1]
	v_pk_add_f32 v[18:19], s[14:15], v[0:1] neg_lo:[0,1] neg_hi:[0,1]
	s_add_i32 s3, s1, s3
	s_mul_i32 s2, s10, s2
	v_mov_b32_e32 v5, v7
	v_mov_b32_e32 v9, v11
	;; [unrolled: 1-line block ×4, first 2 shown]
	s_lshl_b64 s[2:3], s[2:3], 2
	v_pk_add_f32 v[0:1], v[4:5], v[8:9]
	v_pk_add_f32 v[2:3], v[12:13], v[16:17]
	v_mov_b32_e32 v5, v11
	v_mov_b32_e32 v9, v7
	;; [unrolled: 1-line block ×4, first 2 shown]
	s_add_u32 s2, s6, s2
	v_pk_add_f32 v[4:5], v[4:5], v[8:9] neg_lo:[0,1] neg_hi:[0,1]
	v_pk_add_f32 v[6:7], v[12:13], v[16:17] neg_lo:[0,1] neg_hi:[0,1]
	s_addc_u32 s3, s7, s3
	s_andn2_b64 vcc, exec, s[4:5]
	s_mov_b32 s1, s0
	s_cbranch_vccz .LBB0_7
; %bb.5:
	s_andn2_b64 vcc, exec, s[8:9]
	s_cbranch_vccz .LBB0_8
.LBB0_6:
	s_endpgm
.LBB0_7:
	v_pk_add_f32 v[8:9], v[0:1], v[2:3]
	v_pk_add_f32 v[10:11], v[4:5], v[6:7]
	v_mov_b32_e32 v12, 0
	v_pk_mul_f32 v[8:9], s[0:1], v[8:9]
	v_pk_mul_f32 v[10:11], s[0:1], v[10:11]
	global_store_dwordx4 v12, v[8:11], s[2:3]
	s_andn2_b64 vcc, exec, s[8:9]
	s_cbranch_vccnz .LBB0_6
.LBB0_8:
	v_pk_add_f32 v[0:1], v[0:1], v[2:3] neg_lo:[0,1] neg_hi:[0,1]
	v_pk_add_f32 v[2:3], v[4:5], v[6:7] neg_lo:[0,1] neg_hi:[0,1]
	v_pk_mul_f32 v[0:1], s[0:1], v[0:1]
	v_pk_mul_f32 v[2:3], s[0:1], v[2:3]
	s_lshl_b32 s0, s26, 4
	v_mov_b32_e32 v4, s0
	global_store_dwordx4 v4, v[0:3], s[2:3]
	s_endpgm
	.section	.rodata,"a",@progbits
	.p2align	6, 0x0
	.amdhsa_kernel _Z30fast_hadamard_transform_kernelI37fast_hadamard_transform_kernel_traitsILi1ELi3EfEEv18HadamardParamsBase
		.amdhsa_group_segment_fixed_size 0
		.amdhsa_private_segment_fixed_size 0
		.amdhsa_kernarg_size 312
		.amdhsa_user_sgpr_count 2
		.amdhsa_user_sgpr_dispatch_ptr 0
		.amdhsa_user_sgpr_queue_ptr 0
		.amdhsa_user_sgpr_kernarg_segment_ptr 1
		.amdhsa_user_sgpr_dispatch_id 0
		.amdhsa_user_sgpr_kernarg_preload_length 0
		.amdhsa_user_sgpr_kernarg_preload_offset 0
		.amdhsa_user_sgpr_private_segment_size 0
		.amdhsa_uses_dynamic_stack 0
		.amdhsa_enable_private_segment 0
		.amdhsa_system_sgpr_workgroup_id_x 1
		.amdhsa_system_sgpr_workgroup_id_y 0
		.amdhsa_system_sgpr_workgroup_id_z 0
		.amdhsa_system_sgpr_workgroup_info 0
		.amdhsa_system_vgpr_workitem_id 0
		.amdhsa_next_free_vgpr 20
		.amdhsa_next_free_sgpr 30
		.amdhsa_accum_offset 20
		.amdhsa_reserve_vcc 1
		.amdhsa_float_round_mode_32 0
		.amdhsa_float_round_mode_16_64 0
		.amdhsa_float_denorm_mode_32 3
		.amdhsa_float_denorm_mode_16_64 3
		.amdhsa_dx10_clamp 1
		.amdhsa_ieee_mode 1
		.amdhsa_fp16_overflow 0
		.amdhsa_tg_split 0
		.amdhsa_exception_fp_ieee_invalid_op 0
		.amdhsa_exception_fp_denorm_src 0
		.amdhsa_exception_fp_ieee_div_zero 0
		.amdhsa_exception_fp_ieee_overflow 0
		.amdhsa_exception_fp_ieee_underflow 0
		.amdhsa_exception_fp_ieee_inexact 0
		.amdhsa_exception_int_div_zero 0
	.end_amdhsa_kernel
	.section	.text._Z30fast_hadamard_transform_kernelI37fast_hadamard_transform_kernel_traitsILi1ELi3EfEEv18HadamardParamsBase,"axG",@progbits,_Z30fast_hadamard_transform_kernelI37fast_hadamard_transform_kernel_traitsILi1ELi3EfEEv18HadamardParamsBase,comdat
.Lfunc_end0:
	.size	_Z30fast_hadamard_transform_kernelI37fast_hadamard_transform_kernel_traitsILi1ELi3EfEEv18HadamardParamsBase, .Lfunc_end0-_Z30fast_hadamard_transform_kernelI37fast_hadamard_transform_kernel_traitsILi1ELi3EfEEv18HadamardParamsBase
                                        ; -- End function
	.set _Z30fast_hadamard_transform_kernelI37fast_hadamard_transform_kernel_traitsILi1ELi3EfEEv18HadamardParamsBase.num_vgpr, 20
	.set _Z30fast_hadamard_transform_kernelI37fast_hadamard_transform_kernel_traitsILi1ELi3EfEEv18HadamardParamsBase.num_agpr, 0
	.set _Z30fast_hadamard_transform_kernelI37fast_hadamard_transform_kernel_traitsILi1ELi3EfEEv18HadamardParamsBase.numbered_sgpr, 30
	.set _Z30fast_hadamard_transform_kernelI37fast_hadamard_transform_kernel_traitsILi1ELi3EfEEv18HadamardParamsBase.num_named_barrier, 0
	.set _Z30fast_hadamard_transform_kernelI37fast_hadamard_transform_kernel_traitsILi1ELi3EfEEv18HadamardParamsBase.private_seg_size, 0
	.set _Z30fast_hadamard_transform_kernelI37fast_hadamard_transform_kernel_traitsILi1ELi3EfEEv18HadamardParamsBase.uses_vcc, 1
	.set _Z30fast_hadamard_transform_kernelI37fast_hadamard_transform_kernel_traitsILi1ELi3EfEEv18HadamardParamsBase.uses_flat_scratch, 0
	.set _Z30fast_hadamard_transform_kernelI37fast_hadamard_transform_kernel_traitsILi1ELi3EfEEv18HadamardParamsBase.has_dyn_sized_stack, 0
	.set _Z30fast_hadamard_transform_kernelI37fast_hadamard_transform_kernel_traitsILi1ELi3EfEEv18HadamardParamsBase.has_recursion, 0
	.set _Z30fast_hadamard_transform_kernelI37fast_hadamard_transform_kernel_traitsILi1ELi3EfEEv18HadamardParamsBase.has_indirect_call, 0
	.section	.AMDGPU.csdata,"",@progbits
; Kernel info:
; codeLenInByte = 572
; TotalNumSgprs: 36
; NumVgprs: 20
; NumAgprs: 0
; TotalNumVgprs: 20
; ScratchSize: 0
; MemoryBound: 0
; FloatMode: 240
; IeeeMode: 1
; LDSByteSize: 0 bytes/workgroup (compile time only)
; SGPRBlocks: 4
; VGPRBlocks: 2
; NumSGPRsForWavesPerEU: 36
; NumVGPRsForWavesPerEU: 20
; AccumOffset: 20
; Occupancy: 8
; WaveLimiterHint : 0
; COMPUTE_PGM_RSRC2:SCRATCH_EN: 0
; COMPUTE_PGM_RSRC2:USER_SGPR: 2
; COMPUTE_PGM_RSRC2:TRAP_HANDLER: 0
; COMPUTE_PGM_RSRC2:TGID_X_EN: 1
; COMPUTE_PGM_RSRC2:TGID_Y_EN: 0
; COMPUTE_PGM_RSRC2:TGID_Z_EN: 0
; COMPUTE_PGM_RSRC2:TIDIG_COMP_CNT: 0
; COMPUTE_PGM_RSRC3_GFX90A:ACCUM_OFFSET: 4
; COMPUTE_PGM_RSRC3_GFX90A:TG_SPLIT: 0
	.section	.text._Z30fast_hadamard_transform_kernelI37fast_hadamard_transform_kernel_traitsILi2ELi4EfEEv18HadamardParamsBase,"axG",@progbits,_Z30fast_hadamard_transform_kernelI37fast_hadamard_transform_kernel_traitsILi2ELi4EfEEv18HadamardParamsBase,comdat
	.protected	_Z30fast_hadamard_transform_kernelI37fast_hadamard_transform_kernel_traitsILi2ELi4EfEEv18HadamardParamsBase ; -- Begin function _Z30fast_hadamard_transform_kernelI37fast_hadamard_transform_kernel_traitsILi2ELi4EfEEv18HadamardParamsBase
	.globl	_Z30fast_hadamard_transform_kernelI37fast_hadamard_transform_kernel_traitsILi2ELi4EfEEv18HadamardParamsBase
	.p2align	8
	.type	_Z30fast_hadamard_transform_kernelI37fast_hadamard_transform_kernel_traitsILi2ELi4EfEEv18HadamardParamsBase,@function
_Z30fast_hadamard_transform_kernelI37fast_hadamard_transform_kernel_traitsILi2ELi4EfEEv18HadamardParamsBase: ; @_Z30fast_hadamard_transform_kernelI37fast_hadamard_transform_kernel_traitsILi2ELi4EfEEv18HadamardParamsBase
; %bb.0:
	s_load_dwordx4 s[8:11], s[0:1], 0x10
	s_load_dword s12, s[0:1], 0x4
	s_load_dwordx4 s[4:7], s[0:1], 0x28
	s_ashr_i32 s3, s2, 31
	v_lshlrev_b32_e32 v1, 2, v0
	s_waitcnt lgkmcnt(0)
	s_mul_hi_u32 s13, s8, s2
	s_mul_i32 s14, s8, s3
	s_add_i32 s13, s13, s14
	s_mul_i32 s9, s9, s2
	s_add_i32 s9, s13, s9
	s_load_dword s13, s[0:1], 0x44
	s_mul_i32 s8, s8, s2
	s_lshl_b64 s[8:9], s[8:9], 2
	s_add_u32 s4, s4, s8
	s_addc_u32 s5, s5, s9
	v_cmp_gt_u32_e32 vcc, s12, v1
	v_mov_b32_e32 v10, 0
	v_lshlrev_b32_e32 v14, 4, v0
	v_mov_b32_e32 v12, 0
	v_mov_b32_e32 v13, 0
	;; [unrolled: 1-line block ×4, first 2 shown]
	s_and_saveexec_b64 s[8:9], vcc
	s_cbranch_execz .LBB1_2
; %bb.1:
	global_load_dwordx4 v[2:5], v14, s[4:5]
	s_waitcnt vmcnt(0)
	v_mov_b32_e32 v12, v2
	v_mov_b32_e32 v13, v4
	;; [unrolled: 1-line block ×3, first 2 shown]
.LBB1_2:
	s_or_b64 exec, exec, s[8:9]
	s_load_dword s8, s[0:1], 0x20
	s_waitcnt lgkmcnt(0)
	s_and_b32 s0, 0xffff, s13
	v_add_u32_e32 v1, s0, v0
	v_lshlrev_b32_e32 v2, 2, v1
	v_cmp_gt_u32_e64 s[0:1], s12, v2
	v_lshlrev_b32_e32 v15, 4, v1
	v_mov_b32_e32 v11, 0
	v_mov_b32_e32 v8, 0
	;; [unrolled: 1-line block ×3, first 2 shown]
	s_and_saveexec_b64 s[12:13], s[0:1]
	s_cbranch_execz .LBB1_4
; %bb.3:
	global_load_dwordx4 v[6:9], v15, s[4:5]
	s_waitcnt vmcnt(0)
	v_mov_b32_e32 v10, v6
	v_mov_b32_e32 v11, v8
	;; [unrolled: 1-line block ×3, first 2 shown]
.LBB1_4:
	s_or_b64 exec, exec, s[12:13]
	v_mbcnt_lo_u32_b32 v1, -1, 0
	v_mbcnt_hi_u32_b32 v1, -1, v1
	v_and_b32_e32 v21, 64, v1
	v_xor_b32_e32 v20, 1, v1
	v_add_u32_e32 v21, 64, v21
	v_pk_add_f32 v[6:7], v[12:13], v[4:5]
	v_pk_add_f32 v[4:5], v[12:13], v[4:5] neg_lo:[0,1] neg_hi:[0,1]
	v_pk_add_f32 v[16:17], v[10:11], v[8:9]
	v_pk_add_f32 v[8:9], v[10:11], v[8:9] neg_lo:[0,1] neg_hi:[0,1]
	v_cmp_lt_i32_e64 s[4:5], v20, v21
	v_mov_b32_e32 v2, v6
	v_mov_b32_e32 v3, v5
	v_pk_mov_b32 v[12:13], v[6:7], v[4:5] op_sel:[1,0]
	v_mov_b32_e32 v10, v16
	v_mov_b32_e32 v11, v9
	v_pk_mov_b32 v[18:19], v[16:17], v[8:9] op_sel:[1,0]
	v_cndmask_b32_e64 v1, v1, v20, s[4:5]
	v_lshlrev_b32_e32 v20, 2, v1
	v_pk_add_f32 v[2:3], v[2:3], v[12:13]
	v_pk_add_f32 v[10:11], v[10:11], v[18:19]
	v_cmp_eq_u32_e64 s[4:5], 0, v0
	ds_bpermute_b32 v12, v20, v2
	ds_bpermute_b32 v13, v20, v3
	v_cndmask_b32_e64 v1, -v3, v3, s[4:5]
	ds_bpermute_b32 v18, v20, v10
	ds_bpermute_b32 v19, v20, v11
	v_cndmask_b32_e64 v0, -v2, v2, s[4:5]
	v_cndmask_b32_e64 v3, -v11, v11, s[4:5]
	;; [unrolled: 1-line block ×3, first 2 shown]
	v_mov_b32_e32 v10, v6
	v_mov_b32_e32 v11, v4
	;; [unrolled: 1-line block ×6, first 2 shown]
	v_pk_add_f32 v[4:5], v[10:11], v[4:5] neg_lo:[0,1] neg_hi:[0,1]
	v_pk_add_f32 v[6:7], v[6:7], v[8:9] neg_lo:[0,1] neg_hi:[0,1]
	ds_bpermute_b32 v8, v20, v4
	ds_bpermute_b32 v9, v20, v5
	v_cndmask_b32_e64 v5, -v5, v5, s[4:5]
	ds_bpermute_b32 v10, v20, v6
	ds_bpermute_b32 v11, v20, v7
	v_cndmask_b32_e64 v4, -v4, v4, s[4:5]
	v_cndmask_b32_e64 v7, -v7, v7, s[4:5]
	;; [unrolled: 1-line block ×3, first 2 shown]
	s_mul_i32 s3, s10, s3
	s_mul_hi_u32 s4, s10, s2
	s_add_i32 s3, s4, s3
	s_mul_i32 s4, s11, s2
	s_add_i32 s3, s3, s4
	s_mul_i32 s2, s10, s2
	s_lshl_b64 s[2:3], s[2:3], 2
	s_add_u32 s2, s6, s2
	s_waitcnt lgkmcnt(6)
	v_pk_add_f32 v[0:1], v[0:1], v[12:13]
	s_waitcnt lgkmcnt(4)
	v_pk_add_f32 v[2:3], v[2:3], v[18:19]
	s_waitcnt lgkmcnt(2)
	v_pk_add_f32 v[4:5], v[4:5], v[8:9]
	s_waitcnt lgkmcnt(0)
	v_pk_add_f32 v[6:7], v[6:7], v[10:11]
	s_addc_u32 s3, s7, s3
	s_mov_b32 s9, s8
	s_and_saveexec_b64 s[4:5], vcc
	s_cbranch_execnz .LBB1_7
; %bb.5:
	s_or_b64 exec, exec, s[4:5]
	s_and_saveexec_b64 s[4:5], s[0:1]
	s_cbranch_execnz .LBB1_8
.LBB1_6:
	s_endpgm
.LBB1_7:
	v_pk_add_f32 v[8:9], v[0:1], v[2:3]
	v_pk_add_f32 v[10:11], v[4:5], v[6:7]
	v_pk_mul_f32 v[8:9], s[8:9], v[8:9]
	v_pk_mul_f32 v[10:11], s[8:9], v[10:11]
	global_store_dwordx4 v14, v[8:11], s[2:3]
	s_or_b64 exec, exec, s[4:5]
	s_and_saveexec_b64 s[4:5], s[0:1]
	s_cbranch_execz .LBB1_6
.LBB1_8:
	v_pk_add_f32 v[0:1], v[0:1], v[2:3] neg_lo:[0,1] neg_hi:[0,1]
	v_pk_add_f32 v[2:3], v[4:5], v[6:7] neg_lo:[0,1] neg_hi:[0,1]
	v_pk_mul_f32 v[0:1], s[8:9], v[0:1]
	v_pk_mul_f32 v[2:3], s[8:9], v[2:3]
	global_store_dwordx4 v15, v[0:3], s[2:3]
	s_endpgm
	.section	.rodata,"a",@progbits
	.p2align	6, 0x0
	.amdhsa_kernel _Z30fast_hadamard_transform_kernelI37fast_hadamard_transform_kernel_traitsILi2ELi4EfEEv18HadamardParamsBase
		.amdhsa_group_segment_fixed_size 0
		.amdhsa_private_segment_fixed_size 0
		.amdhsa_kernarg_size 312
		.amdhsa_user_sgpr_count 2
		.amdhsa_user_sgpr_dispatch_ptr 0
		.amdhsa_user_sgpr_queue_ptr 0
		.amdhsa_user_sgpr_kernarg_segment_ptr 1
		.amdhsa_user_sgpr_dispatch_id 0
		.amdhsa_user_sgpr_kernarg_preload_length 0
		.amdhsa_user_sgpr_kernarg_preload_offset 0
		.amdhsa_user_sgpr_private_segment_size 0
		.amdhsa_uses_dynamic_stack 0
		.amdhsa_enable_private_segment 0
		.amdhsa_system_sgpr_workgroup_id_x 1
		.amdhsa_system_sgpr_workgroup_id_y 0
		.amdhsa_system_sgpr_workgroup_id_z 0
		.amdhsa_system_sgpr_workgroup_info 0
		.amdhsa_system_vgpr_workitem_id 0
		.amdhsa_next_free_vgpr 22
		.amdhsa_next_free_sgpr 15
		.amdhsa_accum_offset 24
		.amdhsa_reserve_vcc 1
		.amdhsa_float_round_mode_32 0
		.amdhsa_float_round_mode_16_64 0
		.amdhsa_float_denorm_mode_32 3
		.amdhsa_float_denorm_mode_16_64 3
		.amdhsa_dx10_clamp 1
		.amdhsa_ieee_mode 1
		.amdhsa_fp16_overflow 0
		.amdhsa_tg_split 0
		.amdhsa_exception_fp_ieee_invalid_op 0
		.amdhsa_exception_fp_denorm_src 0
		.amdhsa_exception_fp_ieee_div_zero 0
		.amdhsa_exception_fp_ieee_overflow 0
		.amdhsa_exception_fp_ieee_underflow 0
		.amdhsa_exception_fp_ieee_inexact 0
		.amdhsa_exception_int_div_zero 0
	.end_amdhsa_kernel
	.section	.text._Z30fast_hadamard_transform_kernelI37fast_hadamard_transform_kernel_traitsILi2ELi4EfEEv18HadamardParamsBase,"axG",@progbits,_Z30fast_hadamard_transform_kernelI37fast_hadamard_transform_kernel_traitsILi2ELi4EfEEv18HadamardParamsBase,comdat
.Lfunc_end1:
	.size	_Z30fast_hadamard_transform_kernelI37fast_hadamard_transform_kernel_traitsILi2ELi4EfEEv18HadamardParamsBase, .Lfunc_end1-_Z30fast_hadamard_transform_kernelI37fast_hadamard_transform_kernel_traitsILi2ELi4EfEEv18HadamardParamsBase
                                        ; -- End function
	.set _Z30fast_hadamard_transform_kernelI37fast_hadamard_transform_kernel_traitsILi2ELi4EfEEv18HadamardParamsBase.num_vgpr, 22
	.set _Z30fast_hadamard_transform_kernelI37fast_hadamard_transform_kernel_traitsILi2ELi4EfEEv18HadamardParamsBase.num_agpr, 0
	.set _Z30fast_hadamard_transform_kernelI37fast_hadamard_transform_kernel_traitsILi2ELi4EfEEv18HadamardParamsBase.numbered_sgpr, 15
	.set _Z30fast_hadamard_transform_kernelI37fast_hadamard_transform_kernel_traitsILi2ELi4EfEEv18HadamardParamsBase.num_named_barrier, 0
	.set _Z30fast_hadamard_transform_kernelI37fast_hadamard_transform_kernel_traitsILi2ELi4EfEEv18HadamardParamsBase.private_seg_size, 0
	.set _Z30fast_hadamard_transform_kernelI37fast_hadamard_transform_kernel_traitsILi2ELi4EfEEv18HadamardParamsBase.uses_vcc, 1
	.set _Z30fast_hadamard_transform_kernelI37fast_hadamard_transform_kernel_traitsILi2ELi4EfEEv18HadamardParamsBase.uses_flat_scratch, 0
	.set _Z30fast_hadamard_transform_kernelI37fast_hadamard_transform_kernel_traitsILi2ELi4EfEEv18HadamardParamsBase.has_dyn_sized_stack, 0
	.set _Z30fast_hadamard_transform_kernelI37fast_hadamard_transform_kernel_traitsILi2ELi4EfEEv18HadamardParamsBase.has_recursion, 0
	.set _Z30fast_hadamard_transform_kernelI37fast_hadamard_transform_kernel_traitsILi2ELi4EfEEv18HadamardParamsBase.has_indirect_call, 0
	.section	.AMDGPU.csdata,"",@progbits
; Kernel info:
; codeLenInByte = 744
; TotalNumSgprs: 21
; NumVgprs: 22
; NumAgprs: 0
; TotalNumVgprs: 22
; ScratchSize: 0
; MemoryBound: 0
; FloatMode: 240
; IeeeMode: 1
; LDSByteSize: 0 bytes/workgroup (compile time only)
; SGPRBlocks: 2
; VGPRBlocks: 2
; NumSGPRsForWavesPerEU: 21
; NumVGPRsForWavesPerEU: 22
; AccumOffset: 24
; Occupancy: 8
; WaveLimiterHint : 0
; COMPUTE_PGM_RSRC2:SCRATCH_EN: 0
; COMPUTE_PGM_RSRC2:USER_SGPR: 2
; COMPUTE_PGM_RSRC2:TRAP_HANDLER: 0
; COMPUTE_PGM_RSRC2:TGID_X_EN: 1
; COMPUTE_PGM_RSRC2:TGID_Y_EN: 0
; COMPUTE_PGM_RSRC2:TGID_Z_EN: 0
; COMPUTE_PGM_RSRC2:TIDIG_COMP_CNT: 0
; COMPUTE_PGM_RSRC3_GFX90A:ACCUM_OFFSET: 5
; COMPUTE_PGM_RSRC3_GFX90A:TG_SPLIT: 0
	.section	.text._Z30fast_hadamard_transform_kernelI37fast_hadamard_transform_kernel_traitsILi4ELi5EfEEv18HadamardParamsBase,"axG",@progbits,_Z30fast_hadamard_transform_kernelI37fast_hadamard_transform_kernel_traitsILi4ELi5EfEEv18HadamardParamsBase,comdat
	.protected	_Z30fast_hadamard_transform_kernelI37fast_hadamard_transform_kernel_traitsILi4ELi5EfEEv18HadamardParamsBase ; -- Begin function _Z30fast_hadamard_transform_kernelI37fast_hadamard_transform_kernel_traitsILi4ELi5EfEEv18HadamardParamsBase
	.globl	_Z30fast_hadamard_transform_kernelI37fast_hadamard_transform_kernel_traitsILi4ELi5EfEEv18HadamardParamsBase
	.p2align	8
	.type	_Z30fast_hadamard_transform_kernelI37fast_hadamard_transform_kernel_traitsILi4ELi5EfEEv18HadamardParamsBase,@function
_Z30fast_hadamard_transform_kernelI37fast_hadamard_transform_kernel_traitsILi4ELi5EfEEv18HadamardParamsBase: ; @_Z30fast_hadamard_transform_kernelI37fast_hadamard_transform_kernel_traitsILi4ELi5EfEEv18HadamardParamsBase
; %bb.0:
	s_load_dwordx4 s[12:15], s[0:1], 0x10
	s_load_dword s16, s[0:1], 0x4
	s_load_dwordx4 s[8:11], s[0:1], 0x28
	s_ashr_i32 s3, s2, 31
	v_lshlrev_b32_e32 v1, 2, v0
	s_waitcnt lgkmcnt(0)
	s_mul_hi_u32 s4, s12, s2
	s_mul_i32 s5, s12, s3
	s_add_i32 s4, s4, s5
	s_mul_i32 s5, s13, s2
	s_add_i32 s5, s4, s5
	s_mul_i32 s4, s12, s2
	s_load_dword s12, s[0:1], 0x44
	s_lshl_b64 s[4:5], s[4:5], 2
	s_add_u32 s4, s8, s4
	s_addc_u32 s5, s9, s5
	v_cmp_gt_u32_e32 vcc, s16, v1
	v_mov_b32_e32 v10, 0
	v_lshlrev_b32_e32 v14, 4, v0
	v_mov_b32_e32 v12, 0
	v_mov_b32_e32 v13, 0
	;; [unrolled: 1-line block ×4, first 2 shown]
	s_and_saveexec_b64 s[6:7], vcc
	s_cbranch_execz .LBB2_2
; %bb.1:
	global_load_dwordx4 v[2:5], v14, s[4:5]
	s_waitcnt vmcnt(0)
	v_mov_b32_e32 v12, v2
	v_mov_b32_e32 v13, v4
	;; [unrolled: 1-line block ×3, first 2 shown]
.LBB2_2:
	s_or_b64 exec, exec, s[6:7]
	s_load_dword s8, s[0:1], 0x20
	s_waitcnt lgkmcnt(0)
	s_and_b32 s0, 0xffff, s12
	v_add_u32_e32 v1, s0, v0
	v_lshlrev_b32_e32 v2, 2, v1
	v_cmp_gt_u32_e64 s[0:1], s16, v2
	v_lshlrev_b32_e32 v15, 4, v1
	v_mov_b32_e32 v11, 0
	v_mov_b32_e32 v8, 0
	;; [unrolled: 1-line block ×3, first 2 shown]
	s_and_saveexec_b64 s[6:7], s[0:1]
	s_cbranch_execz .LBB2_4
; %bb.3:
	global_load_dwordx4 v[6:9], v15, s[4:5]
	s_waitcnt vmcnt(0)
	v_mov_b32_e32 v10, v6
	v_mov_b32_e32 v11, v8
	;; [unrolled: 1-line block ×3, first 2 shown]
.LBB2_4:
	s_or_b64 exec, exec, s[6:7]
	v_mbcnt_lo_u32_b32 v1, -1, 0
	v_mbcnt_hi_u32_b32 v1, -1, v1
	v_and_b32_e32 v20, 64, v1
	v_add_u32_e32 v20, 64, v20
	v_xor_b32_e32 v22, 1, v1
	v_and_b32_e32 v21, 1, v0
	v_cmp_lt_i32_e64 s[4:5], v22, v20
	v_and_b32_e32 v23, 2, v0
	v_xor_b32_e32 v0, 2, v1
	v_pk_add_f32 v[6:7], v[12:13], v[4:5]
	v_pk_add_f32 v[4:5], v[12:13], v[4:5] neg_lo:[0,1] neg_hi:[0,1]
	v_cndmask_b32_e64 v22, v1, v22, s[4:5]
	v_cmp_lt_i32_e64 s[4:5], v0, v20
	v_mov_b32_e32 v2, v6
	v_mov_b32_e32 v3, v5
	v_pk_mov_b32 v[12:13], v[6:7], v[4:5] op_sel:[1,0]
	v_pk_add_f32 v[16:17], v[10:11], v[8:9]
	v_pk_add_f32 v[8:9], v[10:11], v[8:9] neg_lo:[0,1] neg_hi:[0,1]
	v_cndmask_b32_e64 v0, v1, v0, s[4:5]
	v_mov_b32_e32 v10, v16
	v_mov_b32_e32 v11, v9
	v_pk_mov_b32 v[18:19], v[16:17], v[8:9] op_sel:[1,0]
	v_lshlrev_b32_e32 v22, 2, v22
	v_lshlrev_b32_e32 v20, 2, v0
	v_pk_add_f32 v[0:1], v[2:3], v[12:13]
	v_pk_add_f32 v[2:3], v[10:11], v[18:19]
	ds_bpermute_b32 v10, v22, v0
	ds_bpermute_b32 v11, v22, v1
	v_cmp_eq_u32_e64 s[4:5], 0, v21
	v_cmp_eq_u32_e64 s[6:7], 0, v23
	ds_bpermute_b32 v12, v22, v2
	v_cndmask_b32_e64 v1, -v1, v1, s[4:5]
	v_cndmask_b32_e64 v0, -v0, v0, s[4:5]
	s_waitcnt lgkmcnt(1)
	v_pk_add_f32 v[0:1], v[0:1], v[10:11]
	ds_bpermute_b32 v10, v20, v0
	ds_bpermute_b32 v11, v20, v1
	v_cndmask_b32_e64 v1, -v1, v1, s[6:7]
	v_cndmask_b32_e64 v0, -v0, v0, s[6:7]
	ds_bpermute_b32 v13, v22, v3
	v_cndmask_b32_e64 v3, -v3, v3, s[4:5]
	s_waitcnt lgkmcnt(1)
	v_pk_add_f32 v[0:1], v[0:1], v[10:11]
	v_mov_b32_e32 v10, v6
	v_mov_b32_e32 v11, v4
	;; [unrolled: 1-line block ×6, first 2 shown]
	v_pk_add_f32 v[4:5], v[10:11], v[4:5] neg_lo:[0,1] neg_hi:[0,1]
	v_pk_add_f32 v[6:7], v[6:7], v[8:9] neg_lo:[0,1] neg_hi:[0,1]
	ds_bpermute_b32 v8, v22, v4
	ds_bpermute_b32 v9, v22, v5
	ds_bpermute_b32 v10, v22, v6
	ds_bpermute_b32 v11, v22, v7
	v_cndmask_b32_e64 v2, -v2, v2, s[4:5]
	v_cndmask_b32_e64 v5, -v5, v5, s[4:5]
	;; [unrolled: 1-line block ×5, first 2 shown]
	s_waitcnt lgkmcnt(4)
	v_pk_add_f32 v[2:3], v[2:3], v[12:13]
	s_waitcnt lgkmcnt(2)
	v_pk_add_f32 v[4:5], v[4:5], v[8:9]
	;; [unrolled: 2-line block ×3, first 2 shown]
	ds_bpermute_b32 v12, v20, v2
	ds_bpermute_b32 v13, v20, v3
	;; [unrolled: 1-line block ×6, first 2 shown]
	s_mul_i32 s3, s14, s3
	s_mul_hi_u32 s4, s14, s2
	s_add_i32 s3, s4, s3
	s_mul_i32 s4, s15, s2
	s_add_i32 s3, s3, s4
	s_mul_i32 s2, s14, s2
	s_lshl_b64 s[2:3], s[2:3], 2
	v_cndmask_b32_e64 v3, -v3, v3, s[6:7]
	v_cndmask_b32_e64 v2, -v2, v2, s[6:7]
	;; [unrolled: 1-line block ×6, first 2 shown]
	s_add_u32 s2, s10, s2
	s_waitcnt lgkmcnt(4)
	v_pk_add_f32 v[2:3], v[2:3], v[12:13]
	s_waitcnt lgkmcnt(2)
	v_pk_add_f32 v[4:5], v[4:5], v[8:9]
	;; [unrolled: 2-line block ×3, first 2 shown]
	s_addc_u32 s3, s11, s3
	s_mov_b32 s9, s8
	s_and_saveexec_b64 s[4:5], vcc
	s_cbranch_execnz .LBB2_7
; %bb.5:
	s_or_b64 exec, exec, s[4:5]
	s_and_saveexec_b64 s[4:5], s[0:1]
	s_cbranch_execnz .LBB2_8
.LBB2_6:
	s_endpgm
.LBB2_7:
	v_pk_add_f32 v[8:9], v[0:1], v[2:3]
	v_pk_add_f32 v[10:11], v[4:5], v[6:7]
	v_pk_mul_f32 v[8:9], s[8:9], v[8:9]
	v_pk_mul_f32 v[10:11], s[8:9], v[10:11]
	global_store_dwordx4 v14, v[8:11], s[2:3]
	s_or_b64 exec, exec, s[4:5]
	s_and_saveexec_b64 s[4:5], s[0:1]
	s_cbranch_execz .LBB2_6
.LBB2_8:
	v_pk_add_f32 v[0:1], v[0:1], v[2:3] neg_lo:[0,1] neg_hi:[0,1]
	v_pk_add_f32 v[2:3], v[4:5], v[6:7] neg_lo:[0,1] neg_hi:[0,1]
	v_pk_mul_f32 v[0:1], s[8:9], v[0:1]
	v_pk_mul_f32 v[2:3], s[8:9], v[2:3]
	global_store_dwordx4 v15, v[0:3], s[2:3]
	s_endpgm
	.section	.rodata,"a",@progbits
	.p2align	6, 0x0
	.amdhsa_kernel _Z30fast_hadamard_transform_kernelI37fast_hadamard_transform_kernel_traitsILi4ELi5EfEEv18HadamardParamsBase
		.amdhsa_group_segment_fixed_size 0
		.amdhsa_private_segment_fixed_size 0
		.amdhsa_kernarg_size 312
		.amdhsa_user_sgpr_count 2
		.amdhsa_user_sgpr_dispatch_ptr 0
		.amdhsa_user_sgpr_queue_ptr 0
		.amdhsa_user_sgpr_kernarg_segment_ptr 1
		.amdhsa_user_sgpr_dispatch_id 0
		.amdhsa_user_sgpr_kernarg_preload_length 0
		.amdhsa_user_sgpr_kernarg_preload_offset 0
		.amdhsa_user_sgpr_private_segment_size 0
		.amdhsa_uses_dynamic_stack 0
		.amdhsa_enable_private_segment 0
		.amdhsa_system_sgpr_workgroup_id_x 1
		.amdhsa_system_sgpr_workgroup_id_y 0
		.amdhsa_system_sgpr_workgroup_id_z 0
		.amdhsa_system_sgpr_workgroup_info 0
		.amdhsa_system_vgpr_workitem_id 0
		.amdhsa_next_free_vgpr 24
		.amdhsa_next_free_sgpr 17
		.amdhsa_accum_offset 24
		.amdhsa_reserve_vcc 1
		.amdhsa_float_round_mode_32 0
		.amdhsa_float_round_mode_16_64 0
		.amdhsa_float_denorm_mode_32 3
		.amdhsa_float_denorm_mode_16_64 3
		.amdhsa_dx10_clamp 1
		.amdhsa_ieee_mode 1
		.amdhsa_fp16_overflow 0
		.amdhsa_tg_split 0
		.amdhsa_exception_fp_ieee_invalid_op 0
		.amdhsa_exception_fp_denorm_src 0
		.amdhsa_exception_fp_ieee_div_zero 0
		.amdhsa_exception_fp_ieee_overflow 0
		.amdhsa_exception_fp_ieee_underflow 0
		.amdhsa_exception_fp_ieee_inexact 0
		.amdhsa_exception_int_div_zero 0
	.end_amdhsa_kernel
	.section	.text._Z30fast_hadamard_transform_kernelI37fast_hadamard_transform_kernel_traitsILi4ELi5EfEEv18HadamardParamsBase,"axG",@progbits,_Z30fast_hadamard_transform_kernelI37fast_hadamard_transform_kernel_traitsILi4ELi5EfEEv18HadamardParamsBase,comdat
.Lfunc_end2:
	.size	_Z30fast_hadamard_transform_kernelI37fast_hadamard_transform_kernel_traitsILi4ELi5EfEEv18HadamardParamsBase, .Lfunc_end2-_Z30fast_hadamard_transform_kernelI37fast_hadamard_transform_kernel_traitsILi4ELi5EfEEv18HadamardParamsBase
                                        ; -- End function
	.set _Z30fast_hadamard_transform_kernelI37fast_hadamard_transform_kernel_traitsILi4ELi5EfEEv18HadamardParamsBase.num_vgpr, 24
	.set _Z30fast_hadamard_transform_kernelI37fast_hadamard_transform_kernel_traitsILi4ELi5EfEEv18HadamardParamsBase.num_agpr, 0
	.set _Z30fast_hadamard_transform_kernelI37fast_hadamard_transform_kernel_traitsILi4ELi5EfEEv18HadamardParamsBase.numbered_sgpr, 17
	.set _Z30fast_hadamard_transform_kernelI37fast_hadamard_transform_kernel_traitsILi4ELi5EfEEv18HadamardParamsBase.num_named_barrier, 0
	.set _Z30fast_hadamard_transform_kernelI37fast_hadamard_transform_kernel_traitsILi4ELi5EfEEv18HadamardParamsBase.private_seg_size, 0
	.set _Z30fast_hadamard_transform_kernelI37fast_hadamard_transform_kernel_traitsILi4ELi5EfEEv18HadamardParamsBase.uses_vcc, 1
	.set _Z30fast_hadamard_transform_kernelI37fast_hadamard_transform_kernel_traitsILi4ELi5EfEEv18HadamardParamsBase.uses_flat_scratch, 0
	.set _Z30fast_hadamard_transform_kernelI37fast_hadamard_transform_kernel_traitsILi4ELi5EfEEv18HadamardParamsBase.has_dyn_sized_stack, 0
	.set _Z30fast_hadamard_transform_kernelI37fast_hadamard_transform_kernel_traitsILi4ELi5EfEEv18HadamardParamsBase.has_recursion, 0
	.set _Z30fast_hadamard_transform_kernelI37fast_hadamard_transform_kernel_traitsILi4ELi5EfEEv18HadamardParamsBase.has_indirect_call, 0
	.section	.AMDGPU.csdata,"",@progbits
; Kernel info:
; codeLenInByte = 960
; TotalNumSgprs: 23
; NumVgprs: 24
; NumAgprs: 0
; TotalNumVgprs: 24
; ScratchSize: 0
; MemoryBound: 0
; FloatMode: 240
; IeeeMode: 1
; LDSByteSize: 0 bytes/workgroup (compile time only)
; SGPRBlocks: 2
; VGPRBlocks: 2
; NumSGPRsForWavesPerEU: 23
; NumVGPRsForWavesPerEU: 24
; AccumOffset: 24
; Occupancy: 8
; WaveLimiterHint : 0
; COMPUTE_PGM_RSRC2:SCRATCH_EN: 0
; COMPUTE_PGM_RSRC2:USER_SGPR: 2
; COMPUTE_PGM_RSRC2:TRAP_HANDLER: 0
; COMPUTE_PGM_RSRC2:TGID_X_EN: 1
; COMPUTE_PGM_RSRC2:TGID_Y_EN: 0
; COMPUTE_PGM_RSRC2:TGID_Z_EN: 0
; COMPUTE_PGM_RSRC2:TIDIG_COMP_CNT: 0
; COMPUTE_PGM_RSRC3_GFX90A:ACCUM_OFFSET: 5
; COMPUTE_PGM_RSRC3_GFX90A:TG_SPLIT: 0
	.section	.text._Z30fast_hadamard_transform_kernelI37fast_hadamard_transform_kernel_traitsILi8ELi6EfEEv18HadamardParamsBase,"axG",@progbits,_Z30fast_hadamard_transform_kernelI37fast_hadamard_transform_kernel_traitsILi8ELi6EfEEv18HadamardParamsBase,comdat
	.protected	_Z30fast_hadamard_transform_kernelI37fast_hadamard_transform_kernel_traitsILi8ELi6EfEEv18HadamardParamsBase ; -- Begin function _Z30fast_hadamard_transform_kernelI37fast_hadamard_transform_kernel_traitsILi8ELi6EfEEv18HadamardParamsBase
	.globl	_Z30fast_hadamard_transform_kernelI37fast_hadamard_transform_kernel_traitsILi8ELi6EfEEv18HadamardParamsBase
	.p2align	8
	.type	_Z30fast_hadamard_transform_kernelI37fast_hadamard_transform_kernel_traitsILi8ELi6EfEEv18HadamardParamsBase,@function
_Z30fast_hadamard_transform_kernelI37fast_hadamard_transform_kernel_traitsILi8ELi6EfEEv18HadamardParamsBase: ; @_Z30fast_hadamard_transform_kernelI37fast_hadamard_transform_kernel_traitsILi8ELi6EfEEv18HadamardParamsBase
; %bb.0:
	s_load_dwordx4 s[12:15], s[0:1], 0x10
	s_load_dword s16, s[0:1], 0x4
	s_load_dwordx4 s[8:11], s[0:1], 0x28
	s_ashr_i32 s3, s2, 31
	v_lshlrev_b32_e32 v1, 2, v0
	s_waitcnt lgkmcnt(0)
	s_mul_hi_u32 s4, s12, s2
	s_mul_i32 s5, s12, s3
	s_add_i32 s4, s4, s5
	s_mul_i32 s5, s13, s2
	s_load_dword s13, s[0:1], 0x44
	s_add_i32 s5, s4, s5
	s_mul_i32 s4, s12, s2
	s_lshl_b64 s[4:5], s[4:5], 2
	s_add_u32 s4, s8, s4
	s_addc_u32 s5, s9, s5
	v_cmp_gt_u32_e32 vcc, s16, v1
	v_mov_b32_e32 v10, 0
	v_lshlrev_b32_e32 v14, 4, v0
	v_mov_b32_e32 v12, 0
	v_mov_b32_e32 v13, 0
	;; [unrolled: 1-line block ×4, first 2 shown]
	s_and_saveexec_b64 s[6:7], vcc
	s_cbranch_execz .LBB3_2
; %bb.1:
	global_load_dwordx4 v[2:5], v14, s[4:5]
	s_waitcnt vmcnt(0)
	v_mov_b32_e32 v12, v2
	v_mov_b32_e32 v13, v4
	;; [unrolled: 1-line block ×3, first 2 shown]
.LBB3_2:
	s_or_b64 exec, exec, s[6:7]
	s_load_dword s12, s[0:1], 0x20
	s_waitcnt lgkmcnt(0)
	s_and_b32 s0, 0xffff, s13
	v_add_u32_e32 v1, s0, v0
	v_lshlrev_b32_e32 v2, 2, v1
	v_cmp_gt_u32_e64 s[0:1], s16, v2
	v_lshlrev_b32_e32 v15, 4, v1
	v_mov_b32_e32 v11, 0
	v_mov_b32_e32 v8, 0
	;; [unrolled: 1-line block ×3, first 2 shown]
	s_and_saveexec_b64 s[6:7], s[0:1]
	s_cbranch_execz .LBB3_4
; %bb.3:
	global_load_dwordx4 v[6:9], v15, s[4:5]
	s_waitcnt vmcnt(0)
	v_mov_b32_e32 v10, v6
	v_mov_b32_e32 v11, v8
	;; [unrolled: 1-line block ×3, first 2 shown]
.LBB3_4:
	s_or_b64 exec, exec, s[6:7]
	v_mbcnt_lo_u32_b32 v1, -1, 0
	v_mbcnt_hi_u32_b32 v1, -1, v1
	v_and_b32_e32 v20, 64, v1
	v_add_u32_e32 v20, 64, v20
	v_xor_b32_e32 v22, 1, v1
	v_cmp_lt_i32_e64 s[4:5], v22, v20
	v_xor_b32_e32 v24, 2, v1
	v_and_b32_e32 v21, 1, v0
	v_cndmask_b32_e64 v22, v1, v22, s[4:5]
	v_and_b32_e32 v23, 2, v0
	v_cmp_lt_i32_e64 s[4:5], v24, v20
	v_and_b32_e32 v25, 4, v0
	v_xor_b32_e32 v0, 4, v1
	v_pk_add_f32 v[6:7], v[12:13], v[4:5]
	v_pk_add_f32 v[4:5], v[12:13], v[4:5] neg_lo:[0,1] neg_hi:[0,1]
	v_cndmask_b32_e64 v24, v1, v24, s[4:5]
	v_cmp_lt_i32_e64 s[4:5], v0, v20
	v_mov_b32_e32 v2, v6
	v_mov_b32_e32 v3, v5
	v_pk_mov_b32 v[12:13], v[6:7], v[4:5] op_sel:[1,0]
	v_pk_add_f32 v[16:17], v[10:11], v[8:9]
	v_pk_add_f32 v[8:9], v[10:11], v[8:9] neg_lo:[0,1] neg_hi:[0,1]
	v_cndmask_b32_e64 v0, v1, v0, s[4:5]
	v_mov_b32_e32 v10, v16
	v_mov_b32_e32 v11, v9
	v_pk_mov_b32 v[18:19], v[16:17], v[8:9] op_sel:[1,0]
	v_lshlrev_b32_e32 v22, 2, v22
	v_lshlrev_b32_e32 v20, 2, v0
	v_pk_add_f32 v[0:1], v[2:3], v[12:13]
	v_pk_add_f32 v[2:3], v[10:11], v[18:19]
	ds_bpermute_b32 v10, v22, v0
	ds_bpermute_b32 v11, v22, v1
	v_cmp_eq_u32_e64 s[4:5], 0, v21
	v_lshlrev_b32_e32 v24, 2, v24
	v_cmp_eq_u32_e64 s[6:7], 0, v23
	v_cndmask_b32_e64 v1, -v1, v1, s[4:5]
	v_cndmask_b32_e64 v0, -v0, v0, s[4:5]
	s_waitcnt lgkmcnt(0)
	v_pk_add_f32 v[0:1], v[0:1], v[10:11]
	ds_bpermute_b32 v10, v24, v0
	ds_bpermute_b32 v11, v24, v1
	v_cndmask_b32_e64 v1, -v1, v1, s[6:7]
	v_cndmask_b32_e64 v0, -v0, v0, s[6:7]
	v_cmp_eq_u32_e64 s[8:9], 0, v25
	ds_bpermute_b32 v12, v22, v2
	s_waitcnt lgkmcnt(1)
	v_pk_add_f32 v[0:1], v[0:1], v[10:11]
	ds_bpermute_b32 v10, v20, v0
	ds_bpermute_b32 v11, v20, v1
	v_cndmask_b32_e64 v1, -v1, v1, s[8:9]
	v_cndmask_b32_e64 v0, -v0, v0, s[8:9]
	ds_bpermute_b32 v13, v22, v3
	v_cndmask_b32_e64 v3, -v3, v3, s[4:5]
	s_waitcnt lgkmcnt(1)
	v_pk_add_f32 v[0:1], v[0:1], v[10:11]
	v_mov_b32_e32 v10, v6
	v_mov_b32_e32 v11, v4
	;; [unrolled: 1-line block ×6, first 2 shown]
	v_pk_add_f32 v[4:5], v[10:11], v[4:5] neg_lo:[0,1] neg_hi:[0,1]
	v_pk_add_f32 v[6:7], v[6:7], v[8:9] neg_lo:[0,1] neg_hi:[0,1]
	ds_bpermute_b32 v8, v22, v4
	ds_bpermute_b32 v9, v22, v5
	;; [unrolled: 1-line block ×4, first 2 shown]
	v_cndmask_b32_e64 v2, -v2, v2, s[4:5]
	v_cndmask_b32_e64 v5, -v5, v5, s[4:5]
	;; [unrolled: 1-line block ×5, first 2 shown]
	s_waitcnt lgkmcnt(4)
	v_pk_add_f32 v[2:3], v[2:3], v[12:13]
	s_waitcnt lgkmcnt(2)
	v_pk_add_f32 v[4:5], v[4:5], v[8:9]
	s_waitcnt lgkmcnt(0)
	v_pk_add_f32 v[6:7], v[6:7], v[10:11]
	ds_bpermute_b32 v12, v24, v2
	ds_bpermute_b32 v13, v24, v3
	ds_bpermute_b32 v8, v24, v4
	ds_bpermute_b32 v9, v24, v5
	ds_bpermute_b32 v10, v24, v6
	ds_bpermute_b32 v11, v24, v7
	v_cndmask_b32_e64 v3, -v3, v3, s[6:7]
	v_cndmask_b32_e64 v2, -v2, v2, s[6:7]
	;; [unrolled: 1-line block ×6, first 2 shown]
	s_waitcnt lgkmcnt(4)
	v_pk_add_f32 v[2:3], v[2:3], v[12:13]
	s_waitcnt lgkmcnt(2)
	v_pk_add_f32 v[4:5], v[4:5], v[8:9]
	;; [unrolled: 2-line block ×3, first 2 shown]
	ds_bpermute_b32 v12, v20, v2
	ds_bpermute_b32 v13, v20, v3
	;; [unrolled: 1-line block ×6, first 2 shown]
	s_mul_i32 s3, s14, s3
	s_mul_hi_u32 s4, s14, s2
	s_add_i32 s3, s4, s3
	s_mul_i32 s4, s15, s2
	s_add_i32 s3, s3, s4
	s_mul_i32 s2, s14, s2
	s_lshl_b64 s[2:3], s[2:3], 2
	v_cndmask_b32_e64 v3, -v3, v3, s[8:9]
	v_cndmask_b32_e64 v2, -v2, v2, s[8:9]
	;; [unrolled: 1-line block ×6, first 2 shown]
	s_add_u32 s2, s10, s2
	s_waitcnt lgkmcnt(4)
	v_pk_add_f32 v[2:3], v[2:3], v[12:13]
	s_waitcnt lgkmcnt(2)
	v_pk_add_f32 v[4:5], v[4:5], v[8:9]
	;; [unrolled: 2-line block ×3, first 2 shown]
	s_addc_u32 s3, s11, s3
	s_mov_b32 s13, s12
	s_and_saveexec_b64 s[4:5], vcc
	s_cbranch_execnz .LBB3_7
; %bb.5:
	s_or_b64 exec, exec, s[4:5]
	s_and_saveexec_b64 s[4:5], s[0:1]
	s_cbranch_execnz .LBB3_8
.LBB3_6:
	s_endpgm
.LBB3_7:
	v_pk_add_f32 v[8:9], v[0:1], v[2:3]
	v_pk_add_f32 v[10:11], v[4:5], v[6:7]
	v_pk_mul_f32 v[8:9], s[12:13], v[8:9]
	v_pk_mul_f32 v[10:11], s[12:13], v[10:11]
	global_store_dwordx4 v14, v[8:11], s[2:3]
	s_or_b64 exec, exec, s[4:5]
	s_and_saveexec_b64 s[4:5], s[0:1]
	s_cbranch_execz .LBB3_6
.LBB3_8:
	v_pk_add_f32 v[0:1], v[0:1], v[2:3] neg_lo:[0,1] neg_hi:[0,1]
	v_pk_add_f32 v[2:3], v[4:5], v[6:7] neg_lo:[0,1] neg_hi:[0,1]
	v_pk_mul_f32 v[0:1], s[12:13], v[0:1]
	v_pk_mul_f32 v[2:3], s[12:13], v[2:3]
	global_store_dwordx4 v15, v[0:3], s[2:3]
	s_endpgm
	.section	.rodata,"a",@progbits
	.p2align	6, 0x0
	.amdhsa_kernel _Z30fast_hadamard_transform_kernelI37fast_hadamard_transform_kernel_traitsILi8ELi6EfEEv18HadamardParamsBase
		.amdhsa_group_segment_fixed_size 0
		.amdhsa_private_segment_fixed_size 0
		.amdhsa_kernarg_size 312
		.amdhsa_user_sgpr_count 2
		.amdhsa_user_sgpr_dispatch_ptr 0
		.amdhsa_user_sgpr_queue_ptr 0
		.amdhsa_user_sgpr_kernarg_segment_ptr 1
		.amdhsa_user_sgpr_dispatch_id 0
		.amdhsa_user_sgpr_kernarg_preload_length 0
		.amdhsa_user_sgpr_kernarg_preload_offset 0
		.amdhsa_user_sgpr_private_segment_size 0
		.amdhsa_uses_dynamic_stack 0
		.amdhsa_enable_private_segment 0
		.amdhsa_system_sgpr_workgroup_id_x 1
		.amdhsa_system_sgpr_workgroup_id_y 0
		.amdhsa_system_sgpr_workgroup_id_z 0
		.amdhsa_system_sgpr_workgroup_info 0
		.amdhsa_system_vgpr_workitem_id 0
		.amdhsa_next_free_vgpr 26
		.amdhsa_next_free_sgpr 17
		.amdhsa_accum_offset 28
		.amdhsa_reserve_vcc 1
		.amdhsa_float_round_mode_32 0
		.amdhsa_float_round_mode_16_64 0
		.amdhsa_float_denorm_mode_32 3
		.amdhsa_float_denorm_mode_16_64 3
		.amdhsa_dx10_clamp 1
		.amdhsa_ieee_mode 1
		.amdhsa_fp16_overflow 0
		.amdhsa_tg_split 0
		.amdhsa_exception_fp_ieee_invalid_op 0
		.amdhsa_exception_fp_denorm_src 0
		.amdhsa_exception_fp_ieee_div_zero 0
		.amdhsa_exception_fp_ieee_overflow 0
		.amdhsa_exception_fp_ieee_underflow 0
		.amdhsa_exception_fp_ieee_inexact 0
		.amdhsa_exception_int_div_zero 0
	.end_amdhsa_kernel
	.section	.text._Z30fast_hadamard_transform_kernelI37fast_hadamard_transform_kernel_traitsILi8ELi6EfEEv18HadamardParamsBase,"axG",@progbits,_Z30fast_hadamard_transform_kernelI37fast_hadamard_transform_kernel_traitsILi8ELi6EfEEv18HadamardParamsBase,comdat
.Lfunc_end3:
	.size	_Z30fast_hadamard_transform_kernelI37fast_hadamard_transform_kernel_traitsILi8ELi6EfEEv18HadamardParamsBase, .Lfunc_end3-_Z30fast_hadamard_transform_kernelI37fast_hadamard_transform_kernel_traitsILi8ELi6EfEEv18HadamardParamsBase
                                        ; -- End function
	.set _Z30fast_hadamard_transform_kernelI37fast_hadamard_transform_kernel_traitsILi8ELi6EfEEv18HadamardParamsBase.num_vgpr, 26
	.set _Z30fast_hadamard_transform_kernelI37fast_hadamard_transform_kernel_traitsILi8ELi6EfEEv18HadamardParamsBase.num_agpr, 0
	.set _Z30fast_hadamard_transform_kernelI37fast_hadamard_transform_kernel_traitsILi8ELi6EfEEv18HadamardParamsBase.numbered_sgpr, 17
	.set _Z30fast_hadamard_transform_kernelI37fast_hadamard_transform_kernel_traitsILi8ELi6EfEEv18HadamardParamsBase.num_named_barrier, 0
	.set _Z30fast_hadamard_transform_kernelI37fast_hadamard_transform_kernel_traitsILi8ELi6EfEEv18HadamardParamsBase.private_seg_size, 0
	.set _Z30fast_hadamard_transform_kernelI37fast_hadamard_transform_kernel_traitsILi8ELi6EfEEv18HadamardParamsBase.uses_vcc, 1
	.set _Z30fast_hadamard_transform_kernelI37fast_hadamard_transform_kernel_traitsILi8ELi6EfEEv18HadamardParamsBase.uses_flat_scratch, 0
	.set _Z30fast_hadamard_transform_kernelI37fast_hadamard_transform_kernel_traitsILi8ELi6EfEEv18HadamardParamsBase.has_dyn_sized_stack, 0
	.set _Z30fast_hadamard_transform_kernelI37fast_hadamard_transform_kernel_traitsILi8ELi6EfEEv18HadamardParamsBase.has_recursion, 0
	.set _Z30fast_hadamard_transform_kernelI37fast_hadamard_transform_kernel_traitsILi8ELi6EfEEv18HadamardParamsBase.has_indirect_call, 0
	.section	.AMDGPU.csdata,"",@progbits
; Kernel info:
; codeLenInByte = 1172
; TotalNumSgprs: 23
; NumVgprs: 26
; NumAgprs: 0
; TotalNumVgprs: 26
; ScratchSize: 0
; MemoryBound: 0
; FloatMode: 240
; IeeeMode: 1
; LDSByteSize: 0 bytes/workgroup (compile time only)
; SGPRBlocks: 2
; VGPRBlocks: 3
; NumSGPRsForWavesPerEU: 23
; NumVGPRsForWavesPerEU: 26
; AccumOffset: 28
; Occupancy: 8
; WaveLimiterHint : 0
; COMPUTE_PGM_RSRC2:SCRATCH_EN: 0
; COMPUTE_PGM_RSRC2:USER_SGPR: 2
; COMPUTE_PGM_RSRC2:TRAP_HANDLER: 0
; COMPUTE_PGM_RSRC2:TGID_X_EN: 1
; COMPUTE_PGM_RSRC2:TGID_Y_EN: 0
; COMPUTE_PGM_RSRC2:TGID_Z_EN: 0
; COMPUTE_PGM_RSRC2:TIDIG_COMP_CNT: 0
; COMPUTE_PGM_RSRC3_GFX90A:ACCUM_OFFSET: 6
; COMPUTE_PGM_RSRC3_GFX90A:TG_SPLIT: 0
	.section	.text._Z30fast_hadamard_transform_kernelI37fast_hadamard_transform_kernel_traitsILi16ELi7EfEEv18HadamardParamsBase,"axG",@progbits,_Z30fast_hadamard_transform_kernelI37fast_hadamard_transform_kernel_traitsILi16ELi7EfEEv18HadamardParamsBase,comdat
	.protected	_Z30fast_hadamard_transform_kernelI37fast_hadamard_transform_kernel_traitsILi16ELi7EfEEv18HadamardParamsBase ; -- Begin function _Z30fast_hadamard_transform_kernelI37fast_hadamard_transform_kernel_traitsILi16ELi7EfEEv18HadamardParamsBase
	.globl	_Z30fast_hadamard_transform_kernelI37fast_hadamard_transform_kernel_traitsILi16ELi7EfEEv18HadamardParamsBase
	.p2align	8
	.type	_Z30fast_hadamard_transform_kernelI37fast_hadamard_transform_kernel_traitsILi16ELi7EfEEv18HadamardParamsBase,@function
_Z30fast_hadamard_transform_kernelI37fast_hadamard_transform_kernel_traitsILi16ELi7EfEEv18HadamardParamsBase: ; @_Z30fast_hadamard_transform_kernelI37fast_hadamard_transform_kernel_traitsILi16ELi7EfEEv18HadamardParamsBase
; %bb.0:
	s_load_dwordx4 s[16:19], s[0:1], 0x10
	s_load_dword s8, s[0:1], 0x4
	s_load_dwordx4 s[12:15], s[0:1], 0x28
	s_ashr_i32 s3, s2, 31
	s_load_dword s9, s[0:1], 0x44
	s_waitcnt lgkmcnt(0)
	s_mul_hi_u32 s4, s16, s2
	s_mul_i32 s5, s16, s3
	s_add_i32 s4, s4, s5
	s_mul_i32 s5, s17, s2
	s_add_i32 s5, s4, s5
	s_mul_i32 s4, s16, s2
	s_lshl_b64 s[4:5], s[4:5], 2
	s_add_u32 s4, s12, s4
	v_lshlrev_b32_e32 v1, 2, v0
	s_addc_u32 s5, s13, s5
	v_cmp_gt_u32_e32 vcc, s8, v1
	v_mov_b32_e32 v2, 0
	v_lshlrev_b32_e32 v12, 4, v0
	v_mov_b32_e32 v10, 0
	v_mov_b32_e32 v11, 0
	;; [unrolled: 1-line block ×4, first 2 shown]
	s_and_saveexec_b64 s[6:7], vcc
	s_cbranch_execz .LBB4_2
; %bb.1:
	global_load_dwordx4 v[6:9], v12, s[4:5]
	s_waitcnt vmcnt(0)
	v_mov_b32_e32 v10, v8
	v_mov_b32_e32 v11, v6
	;; [unrolled: 1-line block ×3, first 2 shown]
.LBB4_2:
	s_or_b64 exec, exec, s[6:7]
	s_load_dword s12, s[0:1], 0x20
	s_and_b32 s0, 0xffff, s9
	v_add_u32_e32 v1, s0, v0
	v_lshlrev_b32_e32 v3, 2, v1
	v_cmp_gt_u32_e64 s[0:1], s8, v3
	v_lshlrev_b32_e32 v8, 4, v1
	v_mov_b32_e32 v3, 0
	v_mov_b32_e32 v4, 0
	;; [unrolled: 1-line block ×3, first 2 shown]
	s_and_saveexec_b64 s[6:7], s[0:1]
	s_cbranch_execz .LBB4_4
; %bb.3:
	global_load_dwordx4 v[2:5], v8, s[4:5]
.LBB4_4:
	s_or_b64 exec, exec, s[6:7]
	s_waitcnt vmcnt(0)
	v_mov_b32_e32 v16, v3
	v_mbcnt_lo_u32_b32 v1, -1, 0
	v_pk_add_f32 v[18:19], v[2:3], v[16:17]
	v_pk_add_f32 v[16:17], v[2:3], v[16:17] neg_lo:[0,1] neg_hi:[0,1]
	v_mov_b32_e32 v2, v5
	v_mbcnt_hi_u32_b32 v1, -1, v1
	v_pk_add_f32 v[20:21], v[4:5], v[2:3]
	v_pk_add_f32 v[4:5], v[4:5], v[2:3] neg_lo:[0,1] neg_hi:[0,1]
	v_and_b32_e32 v2, 64, v1
	v_add_u32_e32 v2, 64, v2
	v_xor_b32_e32 v3, 1, v1
	v_cmp_lt_i32_e64 s[4:5], v3, v2
	v_and_b32_e32 v5, 1, v0
	v_and_b32_e32 v13, 2, v0
	v_cndmask_b32_e64 v3, v1, v3, s[4:5]
	v_lshlrev_b32_e32 v9, 2, v3
	v_xor_b32_e32 v3, 2, v1
	v_cmp_lt_i32_e64 s[4:5], v3, v2
	v_and_b32_e32 v24, 4, v0
	v_and_b32_e32 v26, 8, v0
	v_cndmask_b32_e64 v3, v1, v3, s[4:5]
	v_lshlrev_b32_e32 v17, 2, v3
	v_xor_b32_e32 v3, 4, v1
	v_cmp_lt_i32_e64 s[4:5], v3, v2
	v_xor_b32_e32 v0, 8, v1
	v_pk_add_f32 v[14:15], v[10:11], v[6:7]
	v_cndmask_b32_e64 v3, v1, v3, s[4:5]
	v_cmp_lt_i32_e64 s[4:5], v0, v2
	v_pk_add_f32 v[6:7], v[10:11], v[6:7] neg_lo:[0,1] neg_hi:[0,1]
	v_mov_b32_e32 v10, v14
	v_cndmask_b32_e64 v0, v1, v0, s[4:5]
	v_mov_b32_e32 v11, v7
	v_lshlrev_b32_e32 v27, 2, v0
	v_pk_mov_b32 v[0:1], v[14:15], v[6:7] op_sel:[1,0]
	v_cmp_eq_u32_e64 s[10:11], 0, v5
	v_pk_add_f32 v[0:1], v[0:1], v[10:11]
	ds_bpermute_b32 v10, v9, v0
	ds_bpermute_b32 v11, v9, v1
	v_cndmask_b32_e64 v1, -v1, v1, s[10:11]
	v_cndmask_b32_e64 v0, -v0, v0, s[10:11]
	v_cmp_eq_u32_e64 s[4:5], 0, v13
	v_lshlrev_b32_e32 v25, 2, v3
	s_waitcnt lgkmcnt(0)
	v_pk_add_f32 v[0:1], v[0:1], v[10:11]
	ds_bpermute_b32 v10, v17, v0
	ds_bpermute_b32 v11, v17, v1
	v_cndmask_b32_e64 v1, -v1, v1, s[4:5]
	v_cndmask_b32_e64 v0, -v0, v0, s[4:5]
	v_cmp_eq_u32_e64 s[6:7], 0, v24
	v_cmp_eq_u32_e64 s[8:9], 0, v26
	s_waitcnt lgkmcnt(0)
	v_pk_add_f32 v[0:1], v[0:1], v[10:11]
	ds_bpermute_b32 v10, v25, v0
	ds_bpermute_b32 v11, v25, v1
	v_cndmask_b32_e64 v1, -v1, v1, s[6:7]
	v_cndmask_b32_e64 v0, -v0, v0, s[6:7]
	v_mov_b32_e32 v19, v4
	v_mov_b32_e32 v21, v16
	s_waitcnt lgkmcnt(0)
	v_pk_add_f32 v[0:1], v[0:1], v[10:11]
	ds_bpermute_b32 v10, v27, v0
	ds_bpermute_b32 v11, v27, v1
	v_cndmask_b32_e64 v1, -v1, v1, s[8:9]
	v_cndmask_b32_e64 v0, -v0, v0, s[8:9]
	v_pk_add_f32 v[2:3], v[18:19], v[20:21]
	v_mov_b32_e32 v19, v16
	s_waitcnt lgkmcnt(0)
	v_pk_add_f32 v[0:1], v[0:1], v[10:11]
	v_mov_b32_e32 v10, v15
	v_mov_b32_e32 v11, v7
	;; [unrolled: 1-line block ×3, first 2 shown]
	v_pk_add_f32 v[6:7], v[10:11], v[14:15] neg_lo:[0,1] neg_hi:[0,1]
	v_mov_b32_e32 v21, v4
	v_pk_add_f32 v[4:5], v[18:19], v[20:21] neg_lo:[0,1] neg_hi:[0,1]
	ds_bpermute_b32 v10, v9, v6
	ds_bpermute_b32 v11, v9, v7
	ds_bpermute_b32 v22, v9, v2
	ds_bpermute_b32 v23, v9, v3
	ds_bpermute_b32 v14, v9, v4
	ds_bpermute_b32 v15, v9, v5
	v_cndmask_b32_e64 v7, -v7, v7, s[10:11]
	v_cndmask_b32_e64 v6, -v6, v6, s[10:11]
	v_cndmask_b32_e64 v3, -v3, v3, s[10:11]
	v_cndmask_b32_e64 v2, -v2, v2, s[10:11]
	s_waitcnt lgkmcnt(4)
	v_pk_add_f32 v[6:7], v[6:7], v[10:11]
	v_cndmask_b32_e64 v5, -v5, v5, s[10:11]
	v_cndmask_b32_e64 v4, -v4, v4, s[10:11]
	s_waitcnt lgkmcnt(2)
	v_pk_add_f32 v[2:3], v[2:3], v[22:23]
	s_waitcnt lgkmcnt(0)
	v_pk_add_f32 v[4:5], v[4:5], v[14:15]
	ds_bpermute_b32 v10, v17, v6
	ds_bpermute_b32 v11, v17, v7
	ds_bpermute_b32 v22, v17, v2
	ds_bpermute_b32 v23, v17, v3
	ds_bpermute_b32 v14, v17, v4
	ds_bpermute_b32 v15, v17, v5
	v_cndmask_b32_e64 v7, -v7, v7, s[4:5]
	v_cndmask_b32_e64 v6, -v6, v6, s[4:5]
	v_cndmask_b32_e64 v3, -v3, v3, s[4:5]
	v_cndmask_b32_e64 v2, -v2, v2, s[4:5]
	s_waitcnt lgkmcnt(4)
	v_pk_add_f32 v[6:7], v[6:7], v[10:11]
	v_cndmask_b32_e64 v5, -v5, v5, s[4:5]
	v_cndmask_b32_e64 v4, -v4, v4, s[4:5]
	s_waitcnt lgkmcnt(2)
	v_pk_add_f32 v[2:3], v[2:3], v[22:23]
	s_waitcnt lgkmcnt(0)
	v_pk_add_f32 v[4:5], v[4:5], v[14:15]
	;; [unrolled: 18-line block ×3, first 2 shown]
	ds_bpermute_b32 v4, v27, v6
	ds_bpermute_b32 v5, v27, v7
	;; [unrolled: 1-line block ×6, first 2 shown]
	s_mul_i32 s3, s18, s3
	s_mul_hi_u32 s4, s18, s2
	s_add_i32 s3, s4, s3
	s_mul_i32 s4, s19, s2
	s_add_i32 s3, s3, s4
	s_mul_i32 s2, s18, s2
	v_cndmask_b32_e64 v7, -v7, v7, s[8:9]
	v_cndmask_b32_e64 v6, -v6, v6, s[8:9]
	s_lshl_b64 s[2:3], s[2:3], 2
	v_cndmask_b32_e64 v3, -v3, v3, s[8:9]
	v_cndmask_b32_e64 v2, -v2, v2, s[8:9]
	s_waitcnt lgkmcnt(4)
	v_pk_add_f32 v[4:5], v[6:7], v[4:5]
	v_cndmask_b32_e64 v7, -v11, v11, s[8:9]
	v_cndmask_b32_e64 v6, -v10, v10, s[8:9]
	s_add_u32 s2, s14, s2
	s_waitcnt lgkmcnt(2)
	v_pk_add_f32 v[2:3], v[2:3], v[22:23]
	s_waitcnt lgkmcnt(0)
	v_pk_add_f32 v[6:7], v[6:7], v[14:15]
	s_addc_u32 s3, s15, s3
	s_mov_b32 s13, s12
	s_and_saveexec_b64 s[4:5], vcc
	s_cbranch_execnz .LBB4_7
; %bb.5:
	s_or_b64 exec, exec, s[4:5]
	s_and_saveexec_b64 s[4:5], s[0:1]
	s_cbranch_execnz .LBB4_8
.LBB4_6:
	s_endpgm
.LBB4_7:
	v_pk_add_f32 v[10:11], v[0:1], v[2:3]
	s_nop 0
	v_pk_mul_f32 v[14:15], s[12:13], v[10:11]
	v_pk_add_f32 v[10:11], v[4:5], v[6:7]
	s_nop 0
	v_pk_mul_f32 v[16:17], s[12:13], v[10:11]
	global_store_dwordx4 v12, v[14:17], s[2:3]
	s_or_b64 exec, exec, s[4:5]
	s_and_saveexec_b64 s[4:5], s[0:1]
	s_cbranch_execz .LBB4_6
.LBB4_8:
	v_pk_add_f32 v[0:1], v[0:1], v[2:3] neg_lo:[0,1] neg_hi:[0,1]
	v_pk_add_f32 v[2:3], v[4:5], v[6:7] neg_lo:[0,1] neg_hi:[0,1]
	v_pk_mul_f32 v[0:1], s[12:13], v[0:1]
	v_pk_mul_f32 v[2:3], s[12:13], v[2:3]
	global_store_dwordx4 v8, v[0:3], s[2:3]
	s_endpgm
	.section	.rodata,"a",@progbits
	.p2align	6, 0x0
	.amdhsa_kernel _Z30fast_hadamard_transform_kernelI37fast_hadamard_transform_kernel_traitsILi16ELi7EfEEv18HadamardParamsBase
		.amdhsa_group_segment_fixed_size 0
		.amdhsa_private_segment_fixed_size 0
		.amdhsa_kernarg_size 312
		.amdhsa_user_sgpr_count 2
		.amdhsa_user_sgpr_dispatch_ptr 0
		.amdhsa_user_sgpr_queue_ptr 0
		.amdhsa_user_sgpr_kernarg_segment_ptr 1
		.amdhsa_user_sgpr_dispatch_id 0
		.amdhsa_user_sgpr_kernarg_preload_length 0
		.amdhsa_user_sgpr_kernarg_preload_offset 0
		.amdhsa_user_sgpr_private_segment_size 0
		.amdhsa_uses_dynamic_stack 0
		.amdhsa_enable_private_segment 0
		.amdhsa_system_sgpr_workgroup_id_x 1
		.amdhsa_system_sgpr_workgroup_id_y 0
		.amdhsa_system_sgpr_workgroup_id_z 0
		.amdhsa_system_sgpr_workgroup_info 0
		.amdhsa_system_vgpr_workitem_id 0
		.amdhsa_next_free_vgpr 28
		.amdhsa_next_free_sgpr 20
		.amdhsa_accum_offset 28
		.amdhsa_reserve_vcc 1
		.amdhsa_float_round_mode_32 0
		.amdhsa_float_round_mode_16_64 0
		.amdhsa_float_denorm_mode_32 3
		.amdhsa_float_denorm_mode_16_64 3
		.amdhsa_dx10_clamp 1
		.amdhsa_ieee_mode 1
		.amdhsa_fp16_overflow 0
		.amdhsa_tg_split 0
		.amdhsa_exception_fp_ieee_invalid_op 0
		.amdhsa_exception_fp_denorm_src 0
		.amdhsa_exception_fp_ieee_div_zero 0
		.amdhsa_exception_fp_ieee_overflow 0
		.amdhsa_exception_fp_ieee_underflow 0
		.amdhsa_exception_fp_ieee_inexact 0
		.amdhsa_exception_int_div_zero 0
	.end_amdhsa_kernel
	.section	.text._Z30fast_hadamard_transform_kernelI37fast_hadamard_transform_kernel_traitsILi16ELi7EfEEv18HadamardParamsBase,"axG",@progbits,_Z30fast_hadamard_transform_kernelI37fast_hadamard_transform_kernel_traitsILi16ELi7EfEEv18HadamardParamsBase,comdat
.Lfunc_end4:
	.size	_Z30fast_hadamard_transform_kernelI37fast_hadamard_transform_kernel_traitsILi16ELi7EfEEv18HadamardParamsBase, .Lfunc_end4-_Z30fast_hadamard_transform_kernelI37fast_hadamard_transform_kernel_traitsILi16ELi7EfEEv18HadamardParamsBase
                                        ; -- End function
	.set _Z30fast_hadamard_transform_kernelI37fast_hadamard_transform_kernel_traitsILi16ELi7EfEEv18HadamardParamsBase.num_vgpr, 28
	.set _Z30fast_hadamard_transform_kernelI37fast_hadamard_transform_kernel_traitsILi16ELi7EfEEv18HadamardParamsBase.num_agpr, 0
	.set _Z30fast_hadamard_transform_kernelI37fast_hadamard_transform_kernel_traitsILi16ELi7EfEEv18HadamardParamsBase.numbered_sgpr, 20
	.set _Z30fast_hadamard_transform_kernelI37fast_hadamard_transform_kernel_traitsILi16ELi7EfEEv18HadamardParamsBase.num_named_barrier, 0
	.set _Z30fast_hadamard_transform_kernelI37fast_hadamard_transform_kernel_traitsILi16ELi7EfEEv18HadamardParamsBase.private_seg_size, 0
	.set _Z30fast_hadamard_transform_kernelI37fast_hadamard_transform_kernel_traitsILi16ELi7EfEEv18HadamardParamsBase.uses_vcc, 1
	.set _Z30fast_hadamard_transform_kernelI37fast_hadamard_transform_kernel_traitsILi16ELi7EfEEv18HadamardParamsBase.uses_flat_scratch, 0
	.set _Z30fast_hadamard_transform_kernelI37fast_hadamard_transform_kernel_traitsILi16ELi7EfEEv18HadamardParamsBase.has_dyn_sized_stack, 0
	.set _Z30fast_hadamard_transform_kernelI37fast_hadamard_transform_kernel_traitsILi16ELi7EfEEv18HadamardParamsBase.has_recursion, 0
	.set _Z30fast_hadamard_transform_kernelI37fast_hadamard_transform_kernel_traitsILi16ELi7EfEEv18HadamardParamsBase.has_indirect_call, 0
	.section	.AMDGPU.csdata,"",@progbits
; Kernel info:
; codeLenInByte = 1388
; TotalNumSgprs: 26
; NumVgprs: 28
; NumAgprs: 0
; TotalNumVgprs: 28
; ScratchSize: 0
; MemoryBound: 0
; FloatMode: 240
; IeeeMode: 1
; LDSByteSize: 0 bytes/workgroup (compile time only)
; SGPRBlocks: 3
; VGPRBlocks: 3
; NumSGPRsForWavesPerEU: 26
; NumVGPRsForWavesPerEU: 28
; AccumOffset: 28
; Occupancy: 8
; WaveLimiterHint : 0
; COMPUTE_PGM_RSRC2:SCRATCH_EN: 0
; COMPUTE_PGM_RSRC2:USER_SGPR: 2
; COMPUTE_PGM_RSRC2:TRAP_HANDLER: 0
; COMPUTE_PGM_RSRC2:TGID_X_EN: 1
; COMPUTE_PGM_RSRC2:TGID_Y_EN: 0
; COMPUTE_PGM_RSRC2:TGID_Z_EN: 0
; COMPUTE_PGM_RSRC2:TIDIG_COMP_CNT: 0
; COMPUTE_PGM_RSRC3_GFX90A:ACCUM_OFFSET: 6
; COMPUTE_PGM_RSRC3_GFX90A:TG_SPLIT: 0
	.section	.text._Z30fast_hadamard_transform_kernelI37fast_hadamard_transform_kernel_traitsILi32ELi8EfEEv18HadamardParamsBase,"axG",@progbits,_Z30fast_hadamard_transform_kernelI37fast_hadamard_transform_kernel_traitsILi32ELi8EfEEv18HadamardParamsBase,comdat
	.protected	_Z30fast_hadamard_transform_kernelI37fast_hadamard_transform_kernel_traitsILi32ELi8EfEEv18HadamardParamsBase ; -- Begin function _Z30fast_hadamard_transform_kernelI37fast_hadamard_transform_kernel_traitsILi32ELi8EfEEv18HadamardParamsBase
	.globl	_Z30fast_hadamard_transform_kernelI37fast_hadamard_transform_kernel_traitsILi32ELi8EfEEv18HadamardParamsBase
	.p2align	8
	.type	_Z30fast_hadamard_transform_kernelI37fast_hadamard_transform_kernel_traitsILi32ELi8EfEEv18HadamardParamsBase,@function
_Z30fast_hadamard_transform_kernelI37fast_hadamard_transform_kernel_traitsILi32ELi8EfEEv18HadamardParamsBase: ; @_Z30fast_hadamard_transform_kernelI37fast_hadamard_transform_kernel_traitsILi32ELi8EfEEv18HadamardParamsBase
; %bb.0:
	s_load_dwordx4 s[16:19], s[0:1], 0x10
	s_load_dword s8, s[0:1], 0x4
	s_load_dwordx4 s[12:15], s[0:1], 0x28
	s_ashr_i32 s3, s2, 31
	s_load_dword s9, s[0:1], 0x44
	s_waitcnt lgkmcnt(0)
	s_mul_hi_u32 s4, s16, s2
	s_mul_i32 s5, s16, s3
	s_add_i32 s4, s4, s5
	s_mul_i32 s5, s17, s2
	s_add_i32 s5, s4, s5
	s_mul_i32 s4, s16, s2
	s_lshl_b64 s[4:5], s[4:5], 2
	s_add_u32 s4, s12, s4
	v_lshlrev_b32_e32 v1, 2, v0
	s_addc_u32 s5, s13, s5
	v_cmp_gt_u32_e32 vcc, s8, v1
	v_mov_b32_e32 v2, 0
	v_lshlrev_b32_e32 v12, 4, v0
	v_mov_b32_e32 v8, 0
	v_mov_b32_e32 v9, 0
	;; [unrolled: 1-line block ×4, first 2 shown]
	s_and_saveexec_b64 s[6:7], vcc
	s_cbranch_execz .LBB5_2
; %bb.1:
	global_load_dwordx4 v[4:7], v12, s[4:5]
	s_waitcnt vmcnt(0)
	v_mov_b32_e32 v8, v4
	v_mov_b32_e32 v9, v6
	;; [unrolled: 1-line block ×3, first 2 shown]
.LBB5_2:
	s_or_b64 exec, exec, s[6:7]
	s_load_dword s12, s[0:1], 0x20
	s_and_b32 s0, 0xffff, s9
	v_add_u32_e32 v1, s0, v0
	v_lshlrev_b32_e32 v3, 2, v1
	v_cmp_gt_u32_e64 s[0:1], s8, v3
	v_lshlrev_b32_e32 v13, 4, v1
	v_mov_b32_e32 v10, 0
	v_mov_b32_e32 v3, 0
	;; [unrolled: 1-line block ×3, first 2 shown]
	s_and_saveexec_b64 s[6:7], s[0:1]
	s_cbranch_execz .LBB5_4
; %bb.3:
	global_load_dwordx4 v[2:5], v13, s[4:5]
	s_waitcnt vmcnt(0)
	v_mov_b32_e32 v10, v3
	v_mov_b32_e32 v3, v4
	;; [unrolled: 1-line block ×3, first 2 shown]
.LBB5_4:
	s_or_b64 exec, exec, s[6:7]
	v_pk_add_f32 v[16:17], v[2:3], v[10:11]
	v_pk_add_f32 v[2:3], v[2:3], v[10:11] neg_lo:[0,1] neg_hi:[0,1]
	v_add_f32_e32 v18, v16, v17
	v_sub_f32_e32 v19, v16, v17
	v_add_f32_e32 v17, v2, v3
	v_sub_f32_e32 v20, v2, v3
	v_mbcnt_lo_u32_b32 v2, -1, 0
	v_mbcnt_hi_u32_b32 v21, -1, v2
	v_and_b32_e32 v2, 64, v21
	v_add_u32_e32 v22, 64, v2
	v_xor_b32_e32 v2, 1, v21
	v_cmp_lt_i32_e64 s[4:5], v2, v22
	v_pk_add_f32 v[4:5], v[8:9], v[6:7]
	v_pk_add_f32 v[6:7], v[8:9], v[6:7] neg_lo:[0,1] neg_hi:[0,1]
	v_and_b32_e32 v23, 1, v0
	v_cndmask_b32_e64 v2, v21, v2, s[4:5]
	v_mov_b32_e32 v8, v4
	v_mov_b32_e32 v9, v7
	v_pk_mov_b32 v[14:15], v[4:5], v[6:7] op_sel:[1,0]
	v_sub_f32_e32 v1, v4, v5
	v_lshlrev_b32_e32 v11, 2, v2
	v_cmp_eq_u32_e64 s[4:5], 0, v23
	v_sub_f32_e32 v16, v6, v7
	v_pk_add_f32 v[2:3], v[8:9], v[14:15]
	ds_bpermute_b32 v6, v11, v1
	v_cndmask_b32_e64 v14, -v1, v1, s[4:5]
	v_xor_b32_e32 v1, 2, v21
	ds_bpermute_b32 v4, v11, v2
	ds_bpermute_b32 v5, v11, v3
	;; [unrolled: 1-line block ×6, first 2 shown]
	v_cndmask_b32_e64 v3, -v3, v3, s[4:5]
	v_cndmask_b32_e64 v2, -v2, v2, s[4:5]
	;; [unrolled: 1-line block ×7, first 2 shown]
	v_cmp_lt_i32_e64 s[4:5], v1, v22
	ds_bpermute_b32 v11, v11, v20
	v_and_b32_e32 v24, 2, v0
	v_cndmask_b32_e64 v1, v21, v1, s[4:5]
	v_lshlrev_b32_e32 v20, 2, v1
	v_xor_b32_e32 v1, 4, v21
	v_cmp_lt_i32_e64 s[4:5], v1, v22
	v_and_b32_e32 v23, 4, v0
	v_and_b32_e32 v26, 8, v0
	v_cndmask_b32_e64 v1, v21, v1, s[4:5]
	v_lshlrev_b32_e32 v25, 2, v1
	v_xor_b32_e32 v1, 8, v21
	v_cmp_lt_i32_e64 s[4:5], v1, v22
	v_and_b32_e32 v28, 16, v0
	v_xor_b32_e32 v0, 16, v21
	v_cndmask_b32_e64 v1, v21, v1, s[4:5]
	v_cmp_lt_i32_e64 s[4:5], v0, v22
	v_lshlrev_b32_e32 v27, 2, v1
	v_cmp_eq_u32_e64 s[10:11], 0, v24
	v_cndmask_b32_e64 v0, v21, v0, s[4:5]
	v_lshlrev_b32_e32 v21, 2, v0
	s_waitcnt lgkmcnt(0)
	v_pk_add_f32 v[0:1], v[2:3], v[4:5]
	v_pk_add_f32 v[2:3], v[16:17], v[8:9]
	ds_bpermute_b32 v4, v20, v0
	ds_bpermute_b32 v5, v20, v1
	;; [unrolled: 1-line block ×4, first 2 shown]
	v_cndmask_b32_e64 v1, -v1, v1, s[10:11]
	v_cndmask_b32_e64 v0, -v0, v0, s[10:11]
	s_waitcnt lgkmcnt(2)
	v_pk_add_f32 v[0:1], v[0:1], v[4:5]
	v_cndmask_b32_e64 v3, -v3, v3, s[10:11]
	v_cndmask_b32_e64 v2, -v2, v2, s[10:11]
	s_waitcnt lgkmcnt(0)
	v_pk_add_f32 v[2:3], v[2:3], v[8:9]
	ds_bpermute_b32 v4, v25, v0
	ds_bpermute_b32 v5, v25, v1
	;; [unrolled: 1-line block ×4, first 2 shown]
	v_cmp_eq_u32_e64 s[4:5], 0, v23
	v_cmp_eq_u32_e64 s[6:7], 0, v26
	;; [unrolled: 1-line block ×3, first 2 shown]
	v_cndmask_b32_e64 v1, -v1, v1, s[4:5]
	v_cndmask_b32_e64 v0, -v0, v0, s[4:5]
	s_waitcnt lgkmcnt(2)
	v_pk_add_f32 v[0:1], v[0:1], v[4:5]
	v_cndmask_b32_e64 v3, -v3, v3, s[4:5]
	v_cndmask_b32_e64 v2, -v2, v2, s[4:5]
	s_waitcnt lgkmcnt(0)
	v_pk_add_f32 v[2:3], v[2:3], v[8:9]
	ds_bpermute_b32 v4, v27, v0
	ds_bpermute_b32 v5, v27, v1
	;; [unrolled: 1-line block ×4, first 2 shown]
	v_cndmask_b32_e64 v1, -v1, v1, s[6:7]
	v_cndmask_b32_e64 v0, -v0, v0, s[6:7]
	s_waitcnt lgkmcnt(2)
	v_pk_add_f32 v[0:1], v[0:1], v[4:5]
	v_cndmask_b32_e64 v3, -v3, v3, s[6:7]
	v_cndmask_b32_e64 v2, -v2, v2, s[6:7]
	s_waitcnt lgkmcnt(0)
	v_pk_add_f32 v[2:3], v[2:3], v[8:9]
	ds_bpermute_b32 v4, v21, v0
	ds_bpermute_b32 v5, v21, v1
	;; [unrolled: 1-line block ×4, first 2 shown]
	v_cndmask_b32_e64 v1, -v1, v1, s[8:9]
	v_cndmask_b32_e64 v0, -v0, v0, s[8:9]
	s_waitcnt lgkmcnt(2)
	v_pk_add_f32 v[0:1], v[0:1], v[4:5]
	v_cndmask_b32_e64 v3, -v3, v3, s[8:9]
	v_cndmask_b32_e64 v2, -v2, v2, s[8:9]
	v_pk_add_f32 v[4:5], v[14:15], v[6:7]
	v_pk_add_f32 v[6:7], v[18:19], v[10:11]
	s_waitcnt lgkmcnt(0)
	v_pk_add_f32 v[2:3], v[2:3], v[8:9]
	ds_bpermute_b32 v8, v20, v4
	ds_bpermute_b32 v9, v20, v5
	ds_bpermute_b32 v10, v20, v6
	ds_bpermute_b32 v11, v20, v7
	v_cndmask_b32_e64 v5, -v5, v5, s[10:11]
	v_cndmask_b32_e64 v4, -v4, v4, s[10:11]
	v_cndmask_b32_e64 v7, -v7, v7, s[10:11]
	v_cndmask_b32_e64 v6, -v6, v6, s[10:11]
	s_waitcnt lgkmcnt(2)
	v_pk_add_f32 v[4:5], v[4:5], v[8:9]
	s_waitcnt lgkmcnt(0)
	v_pk_add_f32 v[6:7], v[6:7], v[10:11]
	ds_bpermute_b32 v8, v25, v4
	ds_bpermute_b32 v9, v25, v5
	ds_bpermute_b32 v10, v25, v6
	ds_bpermute_b32 v11, v25, v7
	v_cndmask_b32_e64 v5, -v5, v5, s[4:5]
	v_cndmask_b32_e64 v4, -v4, v4, s[4:5]
	v_cndmask_b32_e64 v7, -v7, v7, s[4:5]
	v_cndmask_b32_e64 v6, -v6, v6, s[4:5]
	s_waitcnt lgkmcnt(2)
	v_pk_add_f32 v[4:5], v[4:5], v[8:9]
	s_waitcnt lgkmcnt(0)
	v_pk_add_f32 v[6:7], v[6:7], v[10:11]
	ds_bpermute_b32 v8, v27, v4
	ds_bpermute_b32 v9, v27, v5
	ds_bpermute_b32 v10, v27, v6
	ds_bpermute_b32 v11, v27, v7
	v_cndmask_b32_e64 v5, -v5, v5, s[6:7]
	v_cndmask_b32_e64 v4, -v4, v4, s[6:7]
	v_cndmask_b32_e64 v7, -v7, v7, s[6:7]
	v_cndmask_b32_e64 v6, -v6, v6, s[6:7]
	s_waitcnt lgkmcnt(2)
	v_pk_add_f32 v[4:5], v[4:5], v[8:9]
	s_waitcnt lgkmcnt(0)
	v_pk_add_f32 v[6:7], v[6:7], v[10:11]
	ds_bpermute_b32 v8, v21, v4
	ds_bpermute_b32 v9, v21, v5
	ds_bpermute_b32 v10, v21, v6
	ds_bpermute_b32 v11, v21, v7
	s_mul_i32 s3, s18, s3
	s_mul_hi_u32 s4, s18, s2
	s_add_i32 s3, s4, s3
	s_mul_i32 s4, s19, s2
	s_add_i32 s3, s3, s4
	s_mul_i32 s2, s18, s2
	s_lshl_b64 s[2:3], s[2:3], 2
	v_cndmask_b32_e64 v5, -v5, v5, s[8:9]
	v_cndmask_b32_e64 v4, -v4, v4, s[8:9]
	v_cndmask_b32_e64 v7, -v7, v7, s[8:9]
	v_cndmask_b32_e64 v6, -v6, v6, s[8:9]
	s_add_u32 s2, s14, s2
	s_waitcnt lgkmcnt(2)
	v_pk_add_f32 v[4:5], v[4:5], v[8:9]
	s_waitcnt lgkmcnt(0)
	v_pk_add_f32 v[6:7], v[6:7], v[10:11]
	s_addc_u32 s3, s15, s3
	s_mov_b32 s13, s12
	s_and_saveexec_b64 s[4:5], vcc
	s_cbranch_execnz .LBB5_7
; %bb.5:
	s_or_b64 exec, exec, s[4:5]
	s_and_saveexec_b64 s[4:5], s[0:1]
	s_cbranch_execnz .LBB5_8
.LBB5_6:
	s_endpgm
.LBB5_7:
	v_pk_add_f32 v[8:9], v[0:1], v[2:3]
	v_pk_add_f32 v[10:11], v[4:5], v[6:7]
	v_pk_mul_f32 v[8:9], s[12:13], v[8:9]
	v_pk_mul_f32 v[10:11], s[12:13], v[10:11]
	global_store_dwordx4 v12, v[8:11], s[2:3]
	s_or_b64 exec, exec, s[4:5]
	s_and_saveexec_b64 s[4:5], s[0:1]
	s_cbranch_execz .LBB5_6
.LBB5_8:
	v_pk_add_f32 v[0:1], v[0:1], v[2:3] neg_lo:[0,1] neg_hi:[0,1]
	v_pk_add_f32 v[2:3], v[4:5], v[6:7] neg_lo:[0,1] neg_hi:[0,1]
	v_pk_mul_f32 v[0:1], s[12:13], v[0:1]
	v_pk_mul_f32 v[2:3], s[12:13], v[2:3]
	global_store_dwordx4 v13, v[0:3], s[2:3]
	s_endpgm
	.section	.rodata,"a",@progbits
	.p2align	6, 0x0
	.amdhsa_kernel _Z30fast_hadamard_transform_kernelI37fast_hadamard_transform_kernel_traitsILi32ELi8EfEEv18HadamardParamsBase
		.amdhsa_group_segment_fixed_size 0
		.amdhsa_private_segment_fixed_size 0
		.amdhsa_kernarg_size 312
		.amdhsa_user_sgpr_count 2
		.amdhsa_user_sgpr_dispatch_ptr 0
		.amdhsa_user_sgpr_queue_ptr 0
		.amdhsa_user_sgpr_kernarg_segment_ptr 1
		.amdhsa_user_sgpr_dispatch_id 0
		.amdhsa_user_sgpr_kernarg_preload_length 0
		.amdhsa_user_sgpr_kernarg_preload_offset 0
		.amdhsa_user_sgpr_private_segment_size 0
		.amdhsa_uses_dynamic_stack 0
		.amdhsa_enable_private_segment 0
		.amdhsa_system_sgpr_workgroup_id_x 1
		.amdhsa_system_sgpr_workgroup_id_y 0
		.amdhsa_system_sgpr_workgroup_id_z 0
		.amdhsa_system_sgpr_workgroup_info 0
		.amdhsa_system_vgpr_workitem_id 0
		.amdhsa_next_free_vgpr 29
		.amdhsa_next_free_sgpr 20
		.amdhsa_accum_offset 32
		.amdhsa_reserve_vcc 1
		.amdhsa_float_round_mode_32 0
		.amdhsa_float_round_mode_16_64 0
		.amdhsa_float_denorm_mode_32 3
		.amdhsa_float_denorm_mode_16_64 3
		.amdhsa_dx10_clamp 1
		.amdhsa_ieee_mode 1
		.amdhsa_fp16_overflow 0
		.amdhsa_tg_split 0
		.amdhsa_exception_fp_ieee_invalid_op 0
		.amdhsa_exception_fp_denorm_src 0
		.amdhsa_exception_fp_ieee_div_zero 0
		.amdhsa_exception_fp_ieee_overflow 0
		.amdhsa_exception_fp_ieee_underflow 0
		.amdhsa_exception_fp_ieee_inexact 0
		.amdhsa_exception_int_div_zero 0
	.end_amdhsa_kernel
	.section	.text._Z30fast_hadamard_transform_kernelI37fast_hadamard_transform_kernel_traitsILi32ELi8EfEEv18HadamardParamsBase,"axG",@progbits,_Z30fast_hadamard_transform_kernelI37fast_hadamard_transform_kernel_traitsILi32ELi8EfEEv18HadamardParamsBase,comdat
.Lfunc_end5:
	.size	_Z30fast_hadamard_transform_kernelI37fast_hadamard_transform_kernel_traitsILi32ELi8EfEEv18HadamardParamsBase, .Lfunc_end5-_Z30fast_hadamard_transform_kernelI37fast_hadamard_transform_kernel_traitsILi32ELi8EfEEv18HadamardParamsBase
                                        ; -- End function
	.set _Z30fast_hadamard_transform_kernelI37fast_hadamard_transform_kernel_traitsILi32ELi8EfEEv18HadamardParamsBase.num_vgpr, 29
	.set _Z30fast_hadamard_transform_kernelI37fast_hadamard_transform_kernel_traitsILi32ELi8EfEEv18HadamardParamsBase.num_agpr, 0
	.set _Z30fast_hadamard_transform_kernelI37fast_hadamard_transform_kernel_traitsILi32ELi8EfEEv18HadamardParamsBase.numbered_sgpr, 20
	.set _Z30fast_hadamard_transform_kernelI37fast_hadamard_transform_kernel_traitsILi32ELi8EfEEv18HadamardParamsBase.num_named_barrier, 0
	.set _Z30fast_hadamard_transform_kernelI37fast_hadamard_transform_kernel_traitsILi32ELi8EfEEv18HadamardParamsBase.private_seg_size, 0
	.set _Z30fast_hadamard_transform_kernelI37fast_hadamard_transform_kernel_traitsILi32ELi8EfEEv18HadamardParamsBase.uses_vcc, 1
	.set _Z30fast_hadamard_transform_kernelI37fast_hadamard_transform_kernel_traitsILi32ELi8EfEEv18HadamardParamsBase.uses_flat_scratch, 0
	.set _Z30fast_hadamard_transform_kernelI37fast_hadamard_transform_kernel_traitsILi32ELi8EfEEv18HadamardParamsBase.has_dyn_sized_stack, 0
	.set _Z30fast_hadamard_transform_kernelI37fast_hadamard_transform_kernel_traitsILi32ELi8EfEEv18HadamardParamsBase.has_recursion, 0
	.set _Z30fast_hadamard_transform_kernelI37fast_hadamard_transform_kernel_traitsILi32ELi8EfEEv18HadamardParamsBase.has_indirect_call, 0
	.section	.AMDGPU.csdata,"",@progbits
; Kernel info:
; codeLenInByte = 1540
; TotalNumSgprs: 26
; NumVgprs: 29
; NumAgprs: 0
; TotalNumVgprs: 29
; ScratchSize: 0
; MemoryBound: 0
; FloatMode: 240
; IeeeMode: 1
; LDSByteSize: 0 bytes/workgroup (compile time only)
; SGPRBlocks: 3
; VGPRBlocks: 3
; NumSGPRsForWavesPerEU: 26
; NumVGPRsForWavesPerEU: 29
; AccumOffset: 32
; Occupancy: 8
; WaveLimiterHint : 0
; COMPUTE_PGM_RSRC2:SCRATCH_EN: 0
; COMPUTE_PGM_RSRC2:USER_SGPR: 2
; COMPUTE_PGM_RSRC2:TRAP_HANDLER: 0
; COMPUTE_PGM_RSRC2:TGID_X_EN: 1
; COMPUTE_PGM_RSRC2:TGID_Y_EN: 0
; COMPUTE_PGM_RSRC2:TGID_Z_EN: 0
; COMPUTE_PGM_RSRC2:TIDIG_COMP_CNT: 0
; COMPUTE_PGM_RSRC3_GFX90A:ACCUM_OFFSET: 7
; COMPUTE_PGM_RSRC3_GFX90A:TG_SPLIT: 0
	.section	.text._Z30fast_hadamard_transform_kernelI37fast_hadamard_transform_kernel_traitsILi32ELi9EfEEv18HadamardParamsBase,"axG",@progbits,_Z30fast_hadamard_transform_kernelI37fast_hadamard_transform_kernel_traitsILi32ELi9EfEEv18HadamardParamsBase,comdat
	.protected	_Z30fast_hadamard_transform_kernelI37fast_hadamard_transform_kernel_traitsILi32ELi9EfEEv18HadamardParamsBase ; -- Begin function _Z30fast_hadamard_transform_kernelI37fast_hadamard_transform_kernel_traitsILi32ELi9EfEEv18HadamardParamsBase
	.globl	_Z30fast_hadamard_transform_kernelI37fast_hadamard_transform_kernel_traitsILi32ELi9EfEEv18HadamardParamsBase
	.p2align	8
	.type	_Z30fast_hadamard_transform_kernelI37fast_hadamard_transform_kernel_traitsILi32ELi9EfEEv18HadamardParamsBase,@function
_Z30fast_hadamard_transform_kernelI37fast_hadamard_transform_kernel_traitsILi32ELi9EfEEv18HadamardParamsBase: ; @_Z30fast_hadamard_transform_kernelI37fast_hadamard_transform_kernel_traitsILi32ELi9EfEEv18HadamardParamsBase
; %bb.0:
	s_load_dwordx4 s[20:23], s[0:1], 0x10
	s_load_dword s8, s[0:1], 0x4
	s_load_dwordx4 s[16:19], s[0:1], 0x28
	s_ashr_i32 s3, s2, 31
	s_load_dword s9, s[0:1], 0x44
	s_waitcnt lgkmcnt(0)
	s_mul_hi_u32 s4, s20, s2
	s_mul_i32 s5, s20, s3
	s_add_i32 s4, s4, s5
	s_mul_i32 s5, s21, s2
	s_add_i32 s5, s4, s5
	s_mul_i32 s4, s20, s2
	s_lshl_b64 s[4:5], s[4:5], 2
	s_add_u32 s6, s16, s4
	v_lshlrev_b32_e32 v1, 2, v0
	s_addc_u32 s7, s17, s5
	v_cmp_gt_u32_e32 vcc, s8, v1
	v_mov_b32_e32 v16, 0
	v_lshlrev_b32_e32 v24, 4, v0
	v_mov_b32_e32 v18, 0
	v_mov_b32_e32 v19, 0
	;; [unrolled: 1-line block ×4, first 2 shown]
	s_and_saveexec_b64 s[4:5], vcc
	s_cbranch_execz .LBB6_2
; %bb.1:
	global_load_dwordx4 v[2:5], v24, s[6:7]
	s_waitcnt vmcnt(0)
	v_mov_b32_e32 v18, v2
	v_mov_b32_e32 v19, v4
	;; [unrolled: 1-line block ×3, first 2 shown]
.LBB6_2:
	s_or_b64 exec, exec, s[4:5]
	s_and_b32 s9, 0xffff, s9
	v_add_u32_e32 v1, s9, v0
	v_lshlrev_b32_e32 v2, 2, v1
	v_cmp_gt_u32_e64 s[14:15], s8, v2
	v_lshlrev_b32_e32 v25, 4, v1
	v_mov_b32_e32 v17, 0
	v_mov_b32_e32 v8, 0
	;; [unrolled: 1-line block ×3, first 2 shown]
	s_and_saveexec_b64 s[4:5], s[14:15]
	s_cbranch_execz .LBB6_4
; %bb.3:
	global_load_dwordx4 v[6:9], v25, s[6:7]
	s_waitcnt vmcnt(0)
	v_mov_b32_e32 v16, v6
	v_mov_b32_e32 v17, v8
	;; [unrolled: 1-line block ×3, first 2 shown]
.LBB6_4:
	s_or_b64 exec, exec, s[4:5]
	v_add_u32_e32 v1, s9, v1
	v_lshlrev_b32_e32 v2, 2, v1
	v_cmp_gt_u32_e64 s[16:17], s8, v2
	v_mov_b32_e32 v10, 0
	v_lshlrev_b32_e32 v26, 4, v1
	v_mov_b32_e32 v2, 0
	v_mov_b32_e32 v3, 0
	;; [unrolled: 1-line block ×4, first 2 shown]
	s_and_saveexec_b64 s[4:5], s[16:17]
	s_cbranch_execz .LBB6_6
; %bb.5:
	global_load_dwordx4 v[12:15], v26, s[6:7]
	s_waitcnt vmcnt(0)
	v_mov_b32_e32 v2, v12
	v_mov_b32_e32 v3, v14
	;; [unrolled: 1-line block ×3, first 2 shown]
.LBB6_6:
	s_or_b64 exec, exec, s[4:5]
	s_load_dword s20, s[0:1], 0x20
	v_add_u32_e32 v1, s9, v1
	v_lshlrev_b32_e32 v6, 2, v1
	v_cmp_gt_u32_e64 s[4:5], s8, v6
	v_lshlrev_b32_e32 v27, 4, v1
	v_mov_b32_e32 v6, 0
	v_mov_b32_e32 v11, 0
	;; [unrolled: 1-line block ×3, first 2 shown]
	s_and_saveexec_b64 s[0:1], s[4:5]
	s_cbranch_execz .LBB6_8
; %bb.7:
	global_load_dwordx4 v[10:13], v27, s[6:7]
	s_waitcnt vmcnt(0)
	v_mov_b32_e32 v6, v11
	v_mov_b32_e32 v11, v12
	;; [unrolled: 1-line block ×3, first 2 shown]
.LBB6_8:
	s_or_b64 exec, exec, s[0:1]
	v_pk_add_f32 v[30:31], v[2:3], v[14:15]
	v_pk_add_f32 v[2:3], v[2:3], v[14:15] neg_lo:[0,1] neg_hi:[0,1]
	v_pk_add_f32 v[34:35], v[10:11], v[6:7]
	v_pk_add_f32 v[6:7], v[10:11], v[6:7] neg_lo:[0,1] neg_hi:[0,1]
	v_mov_b32_e32 v15, v3
	v_pk_mov_b32 v[32:33], v[30:31], v[2:3] op_sel:[1,0]
	v_sub_f32_e32 v2, v2, v3
	v_add_f32_e32 v3, v6, v7
	v_sub_f32_e32 v6, v6, v7
	v_mbcnt_lo_u32_b32 v7, -1, 0
	v_mov_b32_e32 v14, v30
	v_sub_f32_e32 v11, v30, v31
	v_mbcnt_hi_u32_b32 v30, -1, v7
	v_pk_add_f32 v[12:13], v[18:19], v[4:5]
	v_pk_add_f32 v[4:5], v[18:19], v[4:5] neg_lo:[0,1] neg_hi:[0,1]
	v_pk_add_f32 v[22:23], v[16:17], v[8:9]
	v_pk_add_f32 v[8:9], v[16:17], v[8:9] neg_lo:[0,1] neg_hi:[0,1]
	v_and_b32_e32 v7, 64, v30
	v_mov_b32_e32 v19, v5
	v_pk_mov_b32 v[20:21], v[12:13], v[4:5] op_sel:[1,0]
	v_pk_mov_b32 v[28:29], v[22:23], v[8:9] op_sel:[1,0]
	v_sub_f32_e32 v4, v4, v5
	v_sub_f32_e32 v5, v8, v9
	v_add_u32_e32 v31, 64, v7
	v_xor_b32_e32 v8, 1, v30
	v_cmp_lt_i32_e64 s[0:1], v8, v31
	v_mov_b32_e32 v16, v22
	v_sub_f32_e32 v1, v12, v13
	v_cndmask_b32_e64 v8, v30, v8, s[0:1]
	v_sub_f32_e32 v10, v22, v23
	v_lshlrev_b32_e32 v22, 2, v8
	ds_bpermute_b32 v8, v22, v1
	v_mov_b32_e32 v17, v9
	ds_bpermute_b32 v9, v22, v4
	v_and_b32_e32 v7, 1, v0
	ds_bpermute_b32 v23, v22, v10
	v_mov_b32_e32 v18, v12
	v_add_f32_e32 v12, v34, v35
	v_sub_f32_e32 v13, v34, v35
	ds_bpermute_b32 v35, v22, v5
	v_cmp_eq_u32_e64 s[0:1], 0, v7
	ds_bpermute_b32 v36, v22, v11
	ds_bpermute_b32 v37, v22, v2
	v_cndmask_b32_e64 v1, -v1, v1, s[0:1]
	s_waitcnt lgkmcnt(0)
	v_add_f32_e32 v42, v1, v8
	v_cndmask_b32_e64 v1, -v4, v4, s[0:1]
	ds_bpermute_b32 v38, v22, v12
	v_add_f32_e32 v43, v1, v9
	v_cndmask_b32_e64 v1, -v10, v10, s[0:1]
	ds_bpermute_b32 v39, v22, v3
	;; [unrolled: 3-line block ×3, first 2 shown]
	v_add_f32_e32 v35, v1, v35
	v_cndmask_b32_e64 v1, -v11, v11, s[0:1]
	v_add_f32_e32 v36, v1, v36
	v_cndmask_b32_e64 v1, -v2, v2, s[0:1]
	;; [unrolled: 2-line block ×3, first 2 shown]
	ds_bpermute_b32 v41, v22, v6
	s_waitcnt lgkmcnt(3)
	v_add_f32_e32 v38, v1, v38
	v_cndmask_b32_e64 v1, -v3, v3, s[0:1]
	s_waitcnt lgkmcnt(2)
	v_add_f32_e32 v39, v1, v39
	v_cndmask_b32_e64 v1, -v13, v13, s[0:1]
	;; [unrolled: 3-line block ×3, first 2 shown]
	v_pk_add_f32 v[2:3], v[18:19], v[20:21]
	v_pk_add_f32 v[6:7], v[16:17], v[28:29]
	;; [unrolled: 1-line block ×3, first 2 shown]
	ds_bpermute_b32 v4, v22, v2
	ds_bpermute_b32 v5, v22, v3
	;; [unrolled: 1-line block ×6, first 2 shown]
	s_waitcnt lgkmcnt(6)
	v_add_f32_e32 v41, v1, v41
	v_xor_b32_e32 v1, 2, v30
	v_cmp_lt_i32_e64 s[6:7], v1, v31
	v_cndmask_b32_e64 v3, -v3, v3, s[0:1]
	v_cndmask_b32_e64 v2, -v2, v2, s[0:1]
	v_cndmask_b32_e64 v1, v30, v1, s[6:7]
	v_cndmask_b32_e64 v7, -v7, v7, s[0:1]
	v_cndmask_b32_e64 v6, -v6, v6, s[0:1]
	;; [unrolled: 1-line block ×4, first 2 shown]
	v_lshlrev_b32_e32 v1, 2, v1
	s_waitcnt lgkmcnt(4)
	v_pk_add_f32 v[2:3], v[2:3], v[4:5]
	s_waitcnt lgkmcnt(2)
	v_pk_add_f32 v[6:7], v[6:7], v[8:9]
	;; [unrolled: 2-line block ×3, first 2 shown]
	ds_bpermute_b32 v4, v1, v2
	ds_bpermute_b32 v5, v1, v3
	;; [unrolled: 1-line block ×16, first 2 shown]
	v_xor_b32_e32 v1, 4, v30
	v_cmp_lt_i32_e64 s[0:1], v1, v31
	v_and_b32_e32 v34, 2, v0
	v_and_b32_e32 v28, 4, v0
	v_cndmask_b32_e64 v1, v30, v1, s[0:1]
	v_lshlrev_b32_e32 v29, 2, v1
	v_xor_b32_e32 v1, 8, v30
	v_and_b32_e32 v32, 8, v0
	v_cmp_lt_i32_e64 s[0:1], v1, v31
	v_and_b32_e32 v45, 16, v0
	v_xor_b32_e32 v0, 16, v30
	v_cndmask_b32_e64 v1, v30, v1, s[0:1]
	v_cmp_lt_i32_e64 s[0:1], v0, v31
	v_cmp_eq_u32_e64 s[12:13], 0, v34
	v_lshlrev_b32_e32 v33, 2, v1
	v_cndmask_b32_e64 v0, v30, v0, s[0:1]
	v_lshlrev_b32_e32 v30, 2, v0
	v_cndmask_b32_e64 v1, -v3, v3, s[12:13]
	v_cndmask_b32_e64 v0, -v2, v2, s[12:13]
	;; [unrolled: 1-line block ×4, first 2 shown]
	s_waitcnt lgkmcnt(14)
	v_pk_add_f32 v[0:1], v[0:1], v[4:5]
	s_waitcnt lgkmcnt(10)
	v_pk_add_f32 v[2:3], v[2:3], v[8:9]
	v_cndmask_b32_e64 v5, -v11, v11, s[12:13]
	v_cndmask_b32_e64 v4, -v10, v10, s[12:13]
	ds_bpermute_b32 v8, v29, v0
	ds_bpermute_b32 v9, v29, v1
	;; [unrolled: 1-line block ×4, first 2 shown]
	v_cndmask_b32_e64 v7, -v39, v39, s[12:13]
	v_cndmask_b32_e64 v6, -v38, v38, s[12:13]
	v_cmp_eq_u32_e64 s[6:7], 0, v28
	s_waitcnt lgkmcnt(10)
	v_pk_add_f32 v[4:5], v[4:5], v[14:15]
	s_waitcnt lgkmcnt(6)
	v_pk_add_f32 v[6:7], v[6:7], v[20:21]
	v_cndmask_b32_e64 v1, -v1, v1, s[6:7]
	v_cndmask_b32_e64 v0, -v0, v0, s[6:7]
	;; [unrolled: 1-line block ×4, first 2 shown]
	s_waitcnt lgkmcnt(2)
	v_pk_add_f32 v[0:1], v[0:1], v[8:9]
	s_waitcnt lgkmcnt(0)
	v_pk_add_f32 v[2:3], v[2:3], v[10:11]
	ds_bpermute_b32 v8, v29, v4
	ds_bpermute_b32 v9, v29, v5
	;; [unrolled: 1-line block ×4, first 2 shown]
	v_cndmask_b32_e64 v5, -v5, v5, s[6:7]
	v_cndmask_b32_e64 v4, -v4, v4, s[6:7]
	;; [unrolled: 1-line block ×4, first 2 shown]
	s_waitcnt lgkmcnt(2)
	v_pk_add_f32 v[4:5], v[4:5], v[8:9]
	s_waitcnt lgkmcnt(0)
	v_pk_add_f32 v[6:7], v[6:7], v[10:11]
	ds_bpermute_b32 v8, v33, v0
	ds_bpermute_b32 v9, v33, v1
	;; [unrolled: 1-line block ×4, first 2 shown]
	v_cmp_eq_u32_e64 s[8:9], 0, v32
	v_cmp_eq_u32_e64 s[10:11], 0, v45
	s_mul_i32 s0, s22, s3
	v_cndmask_b32_e64 v1, -v1, v1, s[8:9]
	v_cndmask_b32_e64 v0, -v0, v0, s[8:9]
	v_cndmask_b32_e64 v3, -v3, v3, s[8:9]
	v_cndmask_b32_e64 v2, -v2, v2, s[8:9]
	s_waitcnt lgkmcnt(2)
	v_pk_add_f32 v[0:1], v[0:1], v[8:9]
	s_waitcnt lgkmcnt(0)
	v_pk_add_f32 v[2:3], v[2:3], v[10:11]
	ds_bpermute_b32 v8, v33, v4
	ds_bpermute_b32 v9, v33, v5
	ds_bpermute_b32 v10, v33, v6
	ds_bpermute_b32 v11, v33, v7
	v_cndmask_b32_e64 v5, -v5, v5, s[8:9]
	v_cndmask_b32_e64 v4, -v4, v4, s[8:9]
	v_cndmask_b32_e64 v7, -v7, v7, s[8:9]
	v_cndmask_b32_e64 v6, -v6, v6, s[8:9]
	s_waitcnt lgkmcnt(2)
	v_pk_add_f32 v[4:5], v[4:5], v[8:9]
	s_waitcnt lgkmcnt(0)
	v_pk_add_f32 v[10:11], v[6:7], v[10:11]
	ds_bpermute_b32 v6, v30, v0
	ds_bpermute_b32 v7, v30, v1
	ds_bpermute_b32 v8, v30, v2
	ds_bpermute_b32 v9, v30, v3
	;; [unrolled: 12-line block ×3, first 2 shown]
	v_cndmask_b32_e64 v5, -v5, v5, s[10:11]
	v_cndmask_b32_e64 v4, -v4, v4, s[10:11]
	s_waitcnt lgkmcnt(2)
	v_pk_add_f32 v[8:9], v[4:5], v[2:3]
	v_cndmask_b32_e64 v3, -v11, v11, s[10:11]
	v_cndmask_b32_e64 v2, -v10, v10, s[10:11]
	s_waitcnt lgkmcnt(0)
	v_pk_add_f32 v[10:11], v[2:3], v[14:15]
	v_cndmask_b32_e64 v15, -v43, v43, s[12:13]
	v_cndmask_b32_e64 v14, -v42, v42, s[12:13]
	v_pk_add_f32 v[12:13], v[14:15], v[12:13]
	v_cndmask_b32_e64 v15, -v35, v35, s[12:13]
	v_cndmask_b32_e64 v14, -v44, v44, s[12:13]
	;; [unrolled: 3-line block ×4, first 2 shown]
	v_pk_add_f32 v[18:19], v[18:19], v[22:23]
	ds_bpermute_b32 v20, v29, v12
	ds_bpermute_b32 v21, v29, v13
	ds_bpermute_b32 v22, v29, v14
	ds_bpermute_b32 v23, v29, v15
	v_cndmask_b32_e64 v13, -v13, v13, s[6:7]
	v_cndmask_b32_e64 v12, -v12, v12, s[6:7]
	v_cndmask_b32_e64 v15, -v15, v15, s[6:7]
	v_cndmask_b32_e64 v14, -v14, v14, s[6:7]
	s_waitcnt lgkmcnt(2)
	v_pk_add_f32 v[12:13], v[12:13], v[20:21]
	s_waitcnt lgkmcnt(0)
	v_pk_add_f32 v[14:15], v[14:15], v[22:23]
	ds_bpermute_b32 v20, v29, v16
	ds_bpermute_b32 v21, v29, v17
	ds_bpermute_b32 v22, v29, v18
	ds_bpermute_b32 v23, v29, v19
	v_cndmask_b32_e64 v17, -v17, v17, s[6:7]
	v_cndmask_b32_e64 v16, -v16, v16, s[6:7]
	v_cndmask_b32_e64 v19, -v19, v19, s[6:7]
	v_cndmask_b32_e64 v18, -v18, v18, s[6:7]
	s_waitcnt lgkmcnt(2)
	v_pk_add_f32 v[16:17], v[16:17], v[20:21]
	s_waitcnt lgkmcnt(0)
	;; [unrolled: 12-line block ×5, first 2 shown]
	v_pk_add_f32 v[18:19], v[14:15], v[20:21]
	ds_bpermute_b32 v14, v30, v16
	ds_bpermute_b32 v15, v30, v17
	;; [unrolled: 1-line block ×4, first 2 shown]
	s_mul_hi_u32 s1, s22, s2
	s_add_i32 s0, s1, s0
	s_mul_i32 s1, s23, s2
	v_cndmask_b32_e64 v17, -v17, v17, s[10:11]
	v_cndmask_b32_e64 v16, -v16, v16, s[10:11]
	s_add_i32 s1, s0, s1
	s_mul_i32 s0, s22, s2
	s_waitcnt lgkmcnt(2)
	v_pk_add_f32 v[20:21], v[16:17], v[14:15]
	v_cndmask_b32_e64 v15, -v23, v23, s[10:11]
	v_cndmask_b32_e64 v14, -v22, v22, s[10:11]
	s_lshl_b64 s[0:1], s[0:1], 2
	s_waitcnt lgkmcnt(0)
	v_pk_add_f32 v[22:23], v[14:15], v[28:29]
	s_add_u32 s0, s18, s0
	v_pk_add_f32 v[2:3], v[0:1], v[6:7]
	v_pk_add_f32 v[4:5], v[8:9], v[10:11]
	;; [unrolled: 1-line block ×4, first 2 shown]
	s_addc_u32 s1, s19, s1
	s_mov_b32 s21, s20
	s_and_saveexec_b64 s[2:3], vcc
	s_cbranch_execz .LBB6_10
; %bb.9:
	v_pk_add_f32 v[28:29], v[2:3], v[4:5]
	v_pk_add_f32 v[30:31], v[14:15], v[16:17]
	v_pk_mul_f32 v[28:29], s[20:21], v[28:29]
	v_pk_mul_f32 v[30:31], s[20:21], v[30:31]
	global_store_dwordx4 v24, v[28:31], s[0:1]
.LBB6_10:
	s_or_b64 exec, exec, s[2:3]
	v_pk_add_f32 v[0:1], v[0:1], v[6:7] neg_lo:[0,1] neg_hi:[0,1]
	v_pk_add_f32 v[6:7], v[8:9], v[10:11] neg_lo:[0,1] neg_hi:[0,1]
	;; [unrolled: 1-line block ×4, first 2 shown]
	s_and_saveexec_b64 s[2:3], s[14:15]
	s_cbranch_execnz .LBB6_14
; %bb.11:
	s_or_b64 exec, exec, s[2:3]
	s_and_saveexec_b64 s[2:3], s[16:17]
	s_cbranch_execnz .LBB6_15
.LBB6_12:
	s_or_b64 exec, exec, s[2:3]
	s_and_saveexec_b64 s[2:3], s[4:5]
	s_cbranch_execnz .LBB6_16
.LBB6_13:
	s_endpgm
.LBB6_14:
	v_pk_add_f32 v[12:13], v[0:1], v[6:7]
	v_pk_add_f32 v[20:21], v[8:9], v[10:11]
	v_pk_mul_f32 v[18:19], s[20:21], v[12:13]
	v_pk_mul_f32 v[20:21], s[20:21], v[20:21]
	global_store_dwordx4 v25, v[18:21], s[0:1]
	s_or_b64 exec, exec, s[2:3]
	s_and_saveexec_b64 s[2:3], s[16:17]
	s_cbranch_execz .LBB6_12
.LBB6_15:
	v_pk_add_f32 v[2:3], v[2:3], v[4:5] neg_lo:[0,1] neg_hi:[0,1]
	v_pk_add_f32 v[4:5], v[14:15], v[16:17] neg_lo:[0,1] neg_hi:[0,1]
	v_pk_mul_f32 v[2:3], s[20:21], v[2:3]
	v_pk_mul_f32 v[4:5], s[20:21], v[4:5]
	global_store_dwordx4 v26, v[2:5], s[0:1]
	s_or_b64 exec, exec, s[2:3]
	s_and_saveexec_b64 s[2:3], s[4:5]
	s_cbranch_execz .LBB6_13
.LBB6_16:
	v_pk_add_f32 v[0:1], v[0:1], v[6:7] neg_lo:[0,1] neg_hi:[0,1]
	v_pk_add_f32 v[2:3], v[8:9], v[10:11] neg_lo:[0,1] neg_hi:[0,1]
	v_pk_mul_f32 v[0:1], s[20:21], v[0:1]
	v_pk_mul_f32 v[2:3], s[20:21], v[2:3]
	global_store_dwordx4 v27, v[0:3], s[0:1]
	s_endpgm
	.section	.rodata,"a",@progbits
	.p2align	6, 0x0
	.amdhsa_kernel _Z30fast_hadamard_transform_kernelI37fast_hadamard_transform_kernel_traitsILi32ELi9EfEEv18HadamardParamsBase
		.amdhsa_group_segment_fixed_size 0
		.amdhsa_private_segment_fixed_size 0
		.amdhsa_kernarg_size 312
		.amdhsa_user_sgpr_count 2
		.amdhsa_user_sgpr_dispatch_ptr 0
		.amdhsa_user_sgpr_queue_ptr 0
		.amdhsa_user_sgpr_kernarg_segment_ptr 1
		.amdhsa_user_sgpr_dispatch_id 0
		.amdhsa_user_sgpr_kernarg_preload_length 0
		.amdhsa_user_sgpr_kernarg_preload_offset 0
		.amdhsa_user_sgpr_private_segment_size 0
		.amdhsa_uses_dynamic_stack 0
		.amdhsa_enable_private_segment 0
		.amdhsa_system_sgpr_workgroup_id_x 1
		.amdhsa_system_sgpr_workgroup_id_y 0
		.amdhsa_system_sgpr_workgroup_id_z 0
		.amdhsa_system_sgpr_workgroup_info 0
		.amdhsa_system_vgpr_workitem_id 0
		.amdhsa_next_free_vgpr 46
		.amdhsa_next_free_sgpr 24
		.amdhsa_accum_offset 48
		.amdhsa_reserve_vcc 1
		.amdhsa_float_round_mode_32 0
		.amdhsa_float_round_mode_16_64 0
		.amdhsa_float_denorm_mode_32 3
		.amdhsa_float_denorm_mode_16_64 3
		.amdhsa_dx10_clamp 1
		.amdhsa_ieee_mode 1
		.amdhsa_fp16_overflow 0
		.amdhsa_tg_split 0
		.amdhsa_exception_fp_ieee_invalid_op 0
		.amdhsa_exception_fp_denorm_src 0
		.amdhsa_exception_fp_ieee_div_zero 0
		.amdhsa_exception_fp_ieee_overflow 0
		.amdhsa_exception_fp_ieee_underflow 0
		.amdhsa_exception_fp_ieee_inexact 0
		.amdhsa_exception_int_div_zero 0
	.end_amdhsa_kernel
	.section	.text._Z30fast_hadamard_transform_kernelI37fast_hadamard_transform_kernel_traitsILi32ELi9EfEEv18HadamardParamsBase,"axG",@progbits,_Z30fast_hadamard_transform_kernelI37fast_hadamard_transform_kernel_traitsILi32ELi9EfEEv18HadamardParamsBase,comdat
.Lfunc_end6:
	.size	_Z30fast_hadamard_transform_kernelI37fast_hadamard_transform_kernel_traitsILi32ELi9EfEEv18HadamardParamsBase, .Lfunc_end6-_Z30fast_hadamard_transform_kernelI37fast_hadamard_transform_kernel_traitsILi32ELi9EfEEv18HadamardParamsBase
                                        ; -- End function
	.set _Z30fast_hadamard_transform_kernelI37fast_hadamard_transform_kernel_traitsILi32ELi9EfEEv18HadamardParamsBase.num_vgpr, 46
	.set _Z30fast_hadamard_transform_kernelI37fast_hadamard_transform_kernel_traitsILi32ELi9EfEEv18HadamardParamsBase.num_agpr, 0
	.set _Z30fast_hadamard_transform_kernelI37fast_hadamard_transform_kernel_traitsILi32ELi9EfEEv18HadamardParamsBase.numbered_sgpr, 24
	.set _Z30fast_hadamard_transform_kernelI37fast_hadamard_transform_kernel_traitsILi32ELi9EfEEv18HadamardParamsBase.num_named_barrier, 0
	.set _Z30fast_hadamard_transform_kernelI37fast_hadamard_transform_kernel_traitsILi32ELi9EfEEv18HadamardParamsBase.private_seg_size, 0
	.set _Z30fast_hadamard_transform_kernelI37fast_hadamard_transform_kernel_traitsILi32ELi9EfEEv18HadamardParamsBase.uses_vcc, 1
	.set _Z30fast_hadamard_transform_kernelI37fast_hadamard_transform_kernel_traitsILi32ELi9EfEEv18HadamardParamsBase.uses_flat_scratch, 0
	.set _Z30fast_hadamard_transform_kernelI37fast_hadamard_transform_kernel_traitsILi32ELi9EfEEv18HadamardParamsBase.has_dyn_sized_stack, 0
	.set _Z30fast_hadamard_transform_kernelI37fast_hadamard_transform_kernel_traitsILi32ELi9EfEEv18HadamardParamsBase.has_recursion, 0
	.set _Z30fast_hadamard_transform_kernelI37fast_hadamard_transform_kernel_traitsILi32ELi9EfEEv18HadamardParamsBase.has_indirect_call, 0
	.section	.AMDGPU.csdata,"",@progbits
; Kernel info:
; codeLenInByte = 2836
; TotalNumSgprs: 30
; NumVgprs: 46
; NumAgprs: 0
; TotalNumVgprs: 46
; ScratchSize: 0
; MemoryBound: 0
; FloatMode: 240
; IeeeMode: 1
; LDSByteSize: 0 bytes/workgroup (compile time only)
; SGPRBlocks: 3
; VGPRBlocks: 5
; NumSGPRsForWavesPerEU: 30
; NumVGPRsForWavesPerEU: 46
; AccumOffset: 48
; Occupancy: 8
; WaveLimiterHint : 0
; COMPUTE_PGM_RSRC2:SCRATCH_EN: 0
; COMPUTE_PGM_RSRC2:USER_SGPR: 2
; COMPUTE_PGM_RSRC2:TRAP_HANDLER: 0
; COMPUTE_PGM_RSRC2:TGID_X_EN: 1
; COMPUTE_PGM_RSRC2:TGID_Y_EN: 0
; COMPUTE_PGM_RSRC2:TGID_Z_EN: 0
; COMPUTE_PGM_RSRC2:TIDIG_COMP_CNT: 0
; COMPUTE_PGM_RSRC3_GFX90A:ACCUM_OFFSET: 11
; COMPUTE_PGM_RSRC3_GFX90A:TG_SPLIT: 0
	.section	.text._Z30fast_hadamard_transform_kernelI37fast_hadamard_transform_kernel_traitsILi128ELi10EfEEv18HadamardParamsBase,"axG",@progbits,_Z30fast_hadamard_transform_kernelI37fast_hadamard_transform_kernel_traitsILi128ELi10EfEEv18HadamardParamsBase,comdat
	.protected	_Z30fast_hadamard_transform_kernelI37fast_hadamard_transform_kernel_traitsILi128ELi10EfEEv18HadamardParamsBase ; -- Begin function _Z30fast_hadamard_transform_kernelI37fast_hadamard_transform_kernel_traitsILi128ELi10EfEEv18HadamardParamsBase
	.globl	_Z30fast_hadamard_transform_kernelI37fast_hadamard_transform_kernel_traitsILi128ELi10EfEEv18HadamardParamsBase
	.p2align	8
	.type	_Z30fast_hadamard_transform_kernelI37fast_hadamard_transform_kernel_traitsILi128ELi10EfEEv18HadamardParamsBase,@function
_Z30fast_hadamard_transform_kernelI37fast_hadamard_transform_kernel_traitsILi128ELi10EfEEv18HadamardParamsBase: ; @_Z30fast_hadamard_transform_kernelI37fast_hadamard_transform_kernel_traitsILi128ELi10EfEEv18HadamardParamsBase
; %bb.0:
	s_load_dwordx4 s[20:23], s[0:1], 0x10
	s_load_dword s8, s[0:1], 0x4
	s_load_dwordx4 s[16:19], s[0:1], 0x28
	s_ashr_i32 s3, s2, 31
	s_load_dword s9, s[0:1], 0x44
	s_waitcnt lgkmcnt(0)
	s_mul_hi_u32 s4, s20, s2
	s_mul_i32 s5, s20, s3
	s_add_i32 s4, s4, s5
	s_mul_i32 s5, s21, s2
	s_add_i32 s5, s4, s5
	s_mul_i32 s4, s20, s2
	s_lshl_b64 s[4:5], s[4:5], 2
	s_add_u32 s4, s16, s4
	v_lshlrev_b32_e32 v1, 2, v0
	s_addc_u32 s5, s17, s5
	v_cmp_gt_u32_e32 vcc, s8, v1
	v_mov_b32_e32 v2, 0
	v_lshlrev_b32_e32 v12, 4, v0
	v_mov_b32_e32 v8, 0
	v_mov_b32_e32 v9, 0
	;; [unrolled: 1-line block ×4, first 2 shown]
	s_and_saveexec_b64 s[6:7], vcc
	s_cbranch_execz .LBB7_2
; %bb.1:
	global_load_dwordx4 v[4:7], v12, s[4:5]
	s_waitcnt vmcnt(0)
	v_mov_b32_e32 v8, v4
	v_mov_b32_e32 v9, v6
	;; [unrolled: 1-line block ×3, first 2 shown]
.LBB7_2:
	s_or_b64 exec, exec, s[6:7]
	s_load_dword s16, s[0:1], 0x20
	s_and_b32 s0, 0xffff, s9
	v_add_u32_e32 v1, s0, v0
	v_lshlrev_b32_e32 v3, 2, v1
	v_cmp_gt_u32_e64 s[0:1], s8, v3
	v_lshlrev_b32_e32 v13, 4, v1
	v_mov_b32_e32 v10, 0
	v_mov_b32_e32 v3, 0
	;; [unrolled: 1-line block ×3, first 2 shown]
	s_and_saveexec_b64 s[6:7], s[0:1]
	s_cbranch_execz .LBB7_4
; %bb.3:
	global_load_dwordx4 v[2:5], v13, s[4:5]
	s_waitcnt vmcnt(0)
	v_mov_b32_e32 v10, v3
	v_mov_b32_e32 v3, v4
	;; [unrolled: 1-line block ×3, first 2 shown]
.LBB7_4:
	s_or_b64 exec, exec, s[6:7]
	v_pk_add_f32 v[16:17], v[2:3], v[10:11]
	v_pk_add_f32 v[2:3], v[2:3], v[10:11] neg_lo:[0,1] neg_hi:[0,1]
	v_add_f32_e32 v18, v16, v17
	v_sub_f32_e32 v19, v16, v17
	v_add_f32_e32 v17, v2, v3
	v_sub_f32_e32 v20, v2, v3
	v_mbcnt_lo_u32_b32 v2, -1, 0
	v_mbcnt_hi_u32_b32 v21, -1, v2
	v_and_b32_e32 v2, 64, v21
	v_add_u32_e32 v22, 64, v2
	v_xor_b32_e32 v2, 1, v21
	v_cmp_lt_i32_e64 s[4:5], v2, v22
	v_pk_add_f32 v[4:5], v[8:9], v[6:7]
	v_pk_add_f32 v[6:7], v[8:9], v[6:7] neg_lo:[0,1] neg_hi:[0,1]
	v_and_b32_e32 v23, 1, v0
	v_cndmask_b32_e64 v2, v21, v2, s[4:5]
	v_mov_b32_e32 v8, v4
	v_mov_b32_e32 v9, v7
	v_pk_mov_b32 v[14:15], v[4:5], v[6:7] op_sel:[1,0]
	v_sub_f32_e32 v1, v4, v5
	v_lshlrev_b32_e32 v25, 2, v2
	v_cmp_eq_u32_e64 s[14:15], 0, v23
	v_sub_f32_e32 v16, v6, v7
	v_pk_add_f32 v[2:3], v[8:9], v[14:15]
	ds_bpermute_b32 v6, v25, v1
	v_cndmask_b32_e64 v14, -v1, v1, s[14:15]
	v_xor_b32_e32 v1, 2, v21
	v_cmp_lt_i32_e64 s[4:5], v1, v22
	ds_bpermute_b32 v7, v25, v16
	ds_bpermute_b32 v8, v25, v18
	v_cndmask_b32_e64 v1, v21, v1, s[4:5]
	ds_bpermute_b32 v10, v25, v19
	ds_bpermute_b32 v11, v25, v20
	v_cndmask_b32_e64 v15, -v16, v16, s[14:15]
	v_cndmask_b32_e64 v16, -v18, v18, s[14:15]
	;; [unrolled: 1-line block ×4, first 2 shown]
	v_lshlrev_b32_e32 v20, 2, v1
	v_xor_b32_e32 v1, 4, v21
	v_cmp_lt_i32_e64 s[4:5], v1, v22
	ds_bpermute_b32 v4, v25, v2
	ds_bpermute_b32 v5, v25, v3
	v_cndmask_b32_e64 v1, v21, v1, s[4:5]
	v_lshlrev_b32_e32 v27, 2, v1
	v_xor_b32_e32 v1, 8, v21
	v_cmp_lt_i32_e64 s[4:5], v1, v22
	v_and_b32_e32 v24, 2, v0
	v_and_b32_e32 v26, 4, v0
	v_cndmask_b32_e64 v1, v21, v1, s[4:5]
	v_lshlrev_b32_e32 v29, 2, v1
	v_xor_b32_e32 v1, 16, v21
	v_cmp_lt_i32_e64 s[4:5], v1, v22
	v_and_b32_e32 v28, 8, v0
	v_and_b32_e32 v30, 16, v0
	v_cndmask_b32_e64 v1, v21, v1, s[4:5]
	v_lshlrev_b32_e32 v31, 2, v1
	v_xor_b32_e32 v1, 32, v21
	v_cmp_lt_i32_e64 s[4:5], v1, v22
	v_and_b32_e32 v32, 32, v0
	v_lshrrev_b32_e32 v22, 1, v0
	v_cndmask_b32_e64 v1, v21, v1, s[4:5]
	v_lshlrev_b32_e32 v21, 2, v1
	v_lshrrev_b32_e32 v1, 6, v0
	v_xor_b32_e32 v0, v1, v0
	v_cndmask_b32_e64 v3, -v3, v3, s[14:15]
	v_cndmask_b32_e64 v2, -v2, v2, s[14:15]
	v_lshl_add_u32 v33, v0, 4, 0
	v_lshlrev_b32_e32 v0, 6, v23
	v_bitop3_b32 v22, v0, v23, v22 bitop3:0x36
	s_waitcnt lgkmcnt(0)
	v_pk_add_f32 v[0:1], v[2:3], v[4:5]
	v_pk_add_f32 v[2:3], v[14:15], v[6:7]
	ds_bpermute_b32 v4, v20, v0
	ds_bpermute_b32 v5, v20, v1
	;; [unrolled: 1-line block ×4, first 2 shown]
	v_cmp_eq_u32_e64 s[4:5], 0, v24
	v_cmp_eq_u32_e64 s[6:7], 0, v26
	;; [unrolled: 1-line block ×3, first 2 shown]
	v_cndmask_b32_e64 v1, -v1, v1, s[4:5]
	v_cndmask_b32_e64 v0, -v0, v0, s[4:5]
	v_cndmask_b32_e64 v3, -v3, v3, s[4:5]
	v_cndmask_b32_e64 v2, -v2, v2, s[4:5]
	s_waitcnt lgkmcnt(2)
	v_pk_add_f32 v[0:1], v[0:1], v[4:5]
	s_waitcnt lgkmcnt(0)
	v_pk_add_f32 v[2:3], v[2:3], v[6:7]
	ds_bpermute_b32 v4, v27, v0
	ds_bpermute_b32 v5, v27, v1
	ds_bpermute_b32 v6, v27, v2
	ds_bpermute_b32 v7, v27, v3
	v_cndmask_b32_e64 v1, -v1, v1, s[6:7]
	v_cndmask_b32_e64 v0, -v0, v0, s[6:7]
	v_cndmask_b32_e64 v3, -v3, v3, s[6:7]
	v_cndmask_b32_e64 v2, -v2, v2, s[6:7]
	s_waitcnt lgkmcnt(2)
	v_pk_add_f32 v[0:1], v[0:1], v[4:5]
	s_waitcnt lgkmcnt(0)
	v_pk_add_f32 v[2:3], v[2:3], v[6:7]
	ds_bpermute_b32 v4, v29, v0
	ds_bpermute_b32 v5, v29, v1
	ds_bpermute_b32 v6, v29, v2
	ds_bpermute_b32 v7, v29, v3
	;; [unrolled: 12-line block ×3, first 2 shown]
	v_cmp_eq_u32_e64 s[10:11], 0, v30
	ds_bpermute_b32 v9, v25, v17
	v_cmp_eq_u32_e64 s[12:13], 0, v32
	v_cndmask_b32_e64 v1, -v1, v1, s[10:11]
	v_cndmask_b32_e64 v0, -v0, v0, s[10:11]
	;; [unrolled: 1-line block ×4, first 2 shown]
	s_waitcnt lgkmcnt(3)
	v_pk_add_f32 v[0:1], v[0:1], v[4:5]
	s_waitcnt lgkmcnt(1)
	v_pk_add_f32 v[2:3], v[2:3], v[6:7]
	ds_bpermute_b32 v4, v21, v0
	ds_bpermute_b32 v5, v21, v1
	;; [unrolled: 1-line block ×4, first 2 shown]
	v_cndmask_b32_e64 v1, -v1, v1, s[12:13]
	v_cndmask_b32_e64 v0, -v0, v0, s[12:13]
	;; [unrolled: 1-line block ×5, first 2 shown]
	s_waitcnt lgkmcnt(2)
	v_pk_add_f32 v[0:1], v[0:1], v[4:5]
	s_waitcnt lgkmcnt(0)
	v_pk_add_f32 v[2:3], v[2:3], v[6:7]
	s_barrier
	ds_write_b128 v33, v[0:3]
	v_pk_add_f32 v[0:1], v[18:19], v[10:11]
	v_pk_add_f32 v[2:3], v[16:17], v[8:9]
	ds_bpermute_b32 v4, v20, v2
	ds_bpermute_b32 v5, v20, v3
	ds_bpermute_b32 v6, v20, v0
	ds_bpermute_b32 v7, v20, v1
	v_cndmask_b32_e64 v3, -v3, v3, s[4:5]
	v_cndmask_b32_e64 v2, -v2, v2, s[4:5]
	v_cndmask_b32_e64 v1, -v1, v1, s[4:5]
	v_cndmask_b32_e64 v0, -v0, v0, s[4:5]
	s_waitcnt lgkmcnt(0)
	v_pk_add_f32 v[0:1], v[0:1], v[6:7]
	v_pk_add_f32 v[2:3], v[2:3], v[4:5]
	ds_bpermute_b32 v4, v27, v2
	ds_bpermute_b32 v5, v27, v3
	ds_bpermute_b32 v6, v27, v0
	ds_bpermute_b32 v7, v27, v1
	v_cndmask_b32_e64 v3, -v3, v3, s[6:7]
	v_cndmask_b32_e64 v2, -v2, v2, s[6:7]
	v_cndmask_b32_e64 v1, -v1, v1, s[6:7]
	v_cndmask_b32_e64 v0, -v0, v0, s[6:7]
	s_waitcnt lgkmcnt(0)
	;; [unrolled: 11-line block ×5, first 2 shown]
	v_pk_add_f32 v[2:3], v[0:1], v[6:7]
	v_pk_add_f32 v[0:1], v[8:9], v[4:5]
	v_lshl_add_u32 v14, v22, 4, 0
	ds_write_b128 v33, v[0:3] offset:2048
	s_waitcnt lgkmcnt(0)
	s_barrier
	ds_read_b128 v[0:3], v14
	ds_read_b128 v[4:7], v14 offset:2048
	s_mul_i32 s3, s22, s3
	s_mul_hi_u32 s4, s22, s2
	s_waitcnt lgkmcnt(0)
	ds_bpermute_b32 v8, v25, v0
	ds_bpermute_b32 v9, v25, v1
	;; [unrolled: 1-line block ×4, first 2 shown]
	v_cndmask_b32_e64 v1, -v1, v1, s[14:15]
	v_cndmask_b32_e64 v0, -v0, v0, s[14:15]
	;; [unrolled: 1-line block ×4, first 2 shown]
	s_waitcnt lgkmcnt(2)
	v_pk_add_f32 v[0:1], v[0:1], v[8:9]
	s_waitcnt lgkmcnt(0)
	v_pk_add_f32 v[2:3], v[2:3], v[10:11]
	ds_bpermute_b32 v8, v25, v4
	ds_bpermute_b32 v9, v25, v5
	;; [unrolled: 1-line block ×4, first 2 shown]
	v_cndmask_b32_e64 v5, -v5, v5, s[14:15]
	v_cndmask_b32_e64 v4, -v4, v4, s[14:15]
	;; [unrolled: 1-line block ×4, first 2 shown]
	s_waitcnt lgkmcnt(2)
	v_pk_add_f32 v[4:5], v[4:5], v[8:9]
	s_waitcnt lgkmcnt(0)
	v_pk_add_f32 v[6:7], v[6:7], v[10:11]
	s_barrier
	ds_write_b128 v14, v[0:3]
	ds_write_b128 v14, v[4:7] offset:2048
	s_waitcnt lgkmcnt(0)
	s_barrier
	ds_read_b128 v[0:3], v33
	ds_read_b128 v[4:7], v33 offset:2048
	s_add_i32 s3, s4, s3
	s_mul_i32 s4, s23, s2
	s_add_i32 s3, s3, s4
	s_mul_i32 s2, s22, s2
	s_lshl_b64 s[2:3], s[2:3], 2
	s_add_u32 s2, s18, s2
	s_addc_u32 s3, s19, s3
	s_mov_b32 s17, s16
	s_and_saveexec_b64 s[4:5], vcc
	s_cbranch_execnz .LBB7_7
; %bb.5:
	s_or_b64 exec, exec, s[4:5]
	s_and_saveexec_b64 s[4:5], s[0:1]
	s_cbranch_execnz .LBB7_8
.LBB7_6:
	s_endpgm
.LBB7_7:
	s_waitcnt lgkmcnt(0)
	v_pk_add_f32 v[8:9], v[0:1], v[4:5]
	v_pk_add_f32 v[10:11], v[2:3], v[6:7]
	v_pk_mul_f32 v[8:9], s[16:17], v[8:9]
	v_pk_mul_f32 v[10:11], s[16:17], v[10:11]
	global_store_dwordx4 v12, v[8:11], s[2:3]
	s_or_b64 exec, exec, s[4:5]
	s_and_saveexec_b64 s[4:5], s[0:1]
	s_cbranch_execz .LBB7_6
.LBB7_8:
	s_waitcnt lgkmcnt(0)
	v_pk_add_f32 v[0:1], v[0:1], v[4:5] neg_lo:[0,1] neg_hi:[0,1]
	v_pk_add_f32 v[2:3], v[2:3], v[6:7] neg_lo:[0,1] neg_hi:[0,1]
	v_pk_mul_f32 v[0:1], s[16:17], v[0:1]
	v_pk_mul_f32 v[2:3], s[16:17], v[2:3]
	global_store_dwordx4 v13, v[0:3], s[2:3]
	s_endpgm
	.section	.rodata,"a",@progbits
	.p2align	6, 0x0
	.amdhsa_kernel _Z30fast_hadamard_transform_kernelI37fast_hadamard_transform_kernel_traitsILi128ELi10EfEEv18HadamardParamsBase
		.amdhsa_group_segment_fixed_size 0
		.amdhsa_private_segment_fixed_size 0
		.amdhsa_kernarg_size 312
		.amdhsa_user_sgpr_count 2
		.amdhsa_user_sgpr_dispatch_ptr 0
		.amdhsa_user_sgpr_queue_ptr 0
		.amdhsa_user_sgpr_kernarg_segment_ptr 1
		.amdhsa_user_sgpr_dispatch_id 0
		.amdhsa_user_sgpr_kernarg_preload_length 0
		.amdhsa_user_sgpr_kernarg_preload_offset 0
		.amdhsa_user_sgpr_private_segment_size 0
		.amdhsa_uses_dynamic_stack 0
		.amdhsa_enable_private_segment 0
		.amdhsa_system_sgpr_workgroup_id_x 1
		.amdhsa_system_sgpr_workgroup_id_y 0
		.amdhsa_system_sgpr_workgroup_id_z 0
		.amdhsa_system_sgpr_workgroup_info 0
		.amdhsa_system_vgpr_workitem_id 0
		.amdhsa_next_free_vgpr 34
		.amdhsa_next_free_sgpr 24
		.amdhsa_accum_offset 36
		.amdhsa_reserve_vcc 1
		.amdhsa_float_round_mode_32 0
		.amdhsa_float_round_mode_16_64 0
		.amdhsa_float_denorm_mode_32 3
		.amdhsa_float_denorm_mode_16_64 3
		.amdhsa_dx10_clamp 1
		.amdhsa_ieee_mode 1
		.amdhsa_fp16_overflow 0
		.amdhsa_tg_split 0
		.amdhsa_exception_fp_ieee_invalid_op 0
		.amdhsa_exception_fp_denorm_src 0
		.amdhsa_exception_fp_ieee_div_zero 0
		.amdhsa_exception_fp_ieee_overflow 0
		.amdhsa_exception_fp_ieee_underflow 0
		.amdhsa_exception_fp_ieee_inexact 0
		.amdhsa_exception_int_div_zero 0
	.end_amdhsa_kernel
	.section	.text._Z30fast_hadamard_transform_kernelI37fast_hadamard_transform_kernel_traitsILi128ELi10EfEEv18HadamardParamsBase,"axG",@progbits,_Z30fast_hadamard_transform_kernelI37fast_hadamard_transform_kernel_traitsILi128ELi10EfEEv18HadamardParamsBase,comdat
.Lfunc_end7:
	.size	_Z30fast_hadamard_transform_kernelI37fast_hadamard_transform_kernel_traitsILi128ELi10EfEEv18HadamardParamsBase, .Lfunc_end7-_Z30fast_hadamard_transform_kernelI37fast_hadamard_transform_kernel_traitsILi128ELi10EfEEv18HadamardParamsBase
                                        ; -- End function
	.set _Z30fast_hadamard_transform_kernelI37fast_hadamard_transform_kernel_traitsILi128ELi10EfEEv18HadamardParamsBase.num_vgpr, 34
	.set _Z30fast_hadamard_transform_kernelI37fast_hadamard_transform_kernel_traitsILi128ELi10EfEEv18HadamardParamsBase.num_agpr, 0
	.set _Z30fast_hadamard_transform_kernelI37fast_hadamard_transform_kernel_traitsILi128ELi10EfEEv18HadamardParamsBase.numbered_sgpr, 24
	.set _Z30fast_hadamard_transform_kernelI37fast_hadamard_transform_kernel_traitsILi128ELi10EfEEv18HadamardParamsBase.num_named_barrier, 0
	.set _Z30fast_hadamard_transform_kernelI37fast_hadamard_transform_kernel_traitsILi128ELi10EfEEv18HadamardParamsBase.private_seg_size, 0
	.set _Z30fast_hadamard_transform_kernelI37fast_hadamard_transform_kernel_traitsILi128ELi10EfEEv18HadamardParamsBase.uses_vcc, 1
	.set _Z30fast_hadamard_transform_kernelI37fast_hadamard_transform_kernel_traitsILi128ELi10EfEEv18HadamardParamsBase.uses_flat_scratch, 0
	.set _Z30fast_hadamard_transform_kernelI37fast_hadamard_transform_kernel_traitsILi128ELi10EfEEv18HadamardParamsBase.has_dyn_sized_stack, 0
	.set _Z30fast_hadamard_transform_kernelI37fast_hadamard_transform_kernel_traitsILi128ELi10EfEEv18HadamardParamsBase.has_recursion, 0
	.set _Z30fast_hadamard_transform_kernelI37fast_hadamard_transform_kernel_traitsILi128ELi10EfEEv18HadamardParamsBase.has_indirect_call, 0
	.section	.AMDGPU.csdata,"",@progbits
; Kernel info:
; codeLenInByte = 2048
; TotalNumSgprs: 30
; NumVgprs: 34
; NumAgprs: 0
; TotalNumVgprs: 34
; ScratchSize: 0
; MemoryBound: 0
; FloatMode: 240
; IeeeMode: 1
; LDSByteSize: 0 bytes/workgroup (compile time only)
; SGPRBlocks: 3
; VGPRBlocks: 4
; NumSGPRsForWavesPerEU: 30
; NumVGPRsForWavesPerEU: 34
; AccumOffset: 36
; Occupancy: 8
; WaveLimiterHint : 0
; COMPUTE_PGM_RSRC2:SCRATCH_EN: 0
; COMPUTE_PGM_RSRC2:USER_SGPR: 2
; COMPUTE_PGM_RSRC2:TRAP_HANDLER: 0
; COMPUTE_PGM_RSRC2:TGID_X_EN: 1
; COMPUTE_PGM_RSRC2:TGID_Y_EN: 0
; COMPUTE_PGM_RSRC2:TGID_Z_EN: 0
; COMPUTE_PGM_RSRC2:TIDIG_COMP_CNT: 0
; COMPUTE_PGM_RSRC3_GFX90A:ACCUM_OFFSET: 8
; COMPUTE_PGM_RSRC3_GFX90A:TG_SPLIT: 0
	.section	.text._Z30fast_hadamard_transform_kernelI37fast_hadamard_transform_kernel_traitsILi256ELi11EfEEv18HadamardParamsBase,"axG",@progbits,_Z30fast_hadamard_transform_kernelI37fast_hadamard_transform_kernel_traitsILi256ELi11EfEEv18HadamardParamsBase,comdat
	.protected	_Z30fast_hadamard_transform_kernelI37fast_hadamard_transform_kernel_traitsILi256ELi11EfEEv18HadamardParamsBase ; -- Begin function _Z30fast_hadamard_transform_kernelI37fast_hadamard_transform_kernel_traitsILi256ELi11EfEEv18HadamardParamsBase
	.globl	_Z30fast_hadamard_transform_kernelI37fast_hadamard_transform_kernel_traitsILi256ELi11EfEEv18HadamardParamsBase
	.p2align	8
	.type	_Z30fast_hadamard_transform_kernelI37fast_hadamard_transform_kernel_traitsILi256ELi11EfEEv18HadamardParamsBase,@function
_Z30fast_hadamard_transform_kernelI37fast_hadamard_transform_kernel_traitsILi256ELi11EfEEv18HadamardParamsBase: ; @_Z30fast_hadamard_transform_kernelI37fast_hadamard_transform_kernel_traitsILi256ELi11EfEEv18HadamardParamsBase
; %bb.0:
	s_load_dwordx4 s[20:23], s[0:1], 0x10
	s_load_dword s8, s[0:1], 0x4
	s_load_dwordx4 s[16:19], s[0:1], 0x28
	s_ashr_i32 s3, s2, 31
	s_load_dword s9, s[0:1], 0x44
	s_waitcnt lgkmcnt(0)
	s_mul_hi_u32 s4, s20, s2
	s_mul_i32 s5, s20, s3
	s_add_i32 s4, s4, s5
	s_mul_i32 s5, s21, s2
	s_add_i32 s5, s4, s5
	s_mul_i32 s4, s20, s2
	s_lshl_b64 s[4:5], s[4:5], 2
	s_add_u32 s4, s16, s4
	v_lshlrev_b32_e32 v1, 2, v0
	s_addc_u32 s5, s17, s5
	v_cmp_gt_u32_e32 vcc, s8, v1
	v_mov_b32_e32 v2, 0
	v_lshlrev_b32_e32 v12, 4, v0
	v_mov_b32_e32 v8, 0
	v_mov_b32_e32 v9, 0
	v_mov_b32_e32 v6, 0
	v_mov_b32_e32 v7, 0
	s_and_saveexec_b64 s[6:7], vcc
	s_cbranch_execz .LBB8_2
; %bb.1:
	global_load_dwordx4 v[4:7], v12, s[4:5]
	s_waitcnt vmcnt(0)
	v_mov_b32_e32 v8, v4
	v_mov_b32_e32 v9, v6
	;; [unrolled: 1-line block ×3, first 2 shown]
.LBB8_2:
	s_or_b64 exec, exec, s[6:7]
	s_load_dword s16, s[0:1], 0x20
	s_and_b32 s0, 0xffff, s9
	v_add_u32_e32 v1, s0, v0
	v_lshlrev_b32_e32 v3, 2, v1
	v_cmp_gt_u32_e64 s[0:1], s8, v3
	v_lshlrev_b32_e32 v13, 4, v1
	v_mov_b32_e32 v10, 0
	v_mov_b32_e32 v3, 0
	;; [unrolled: 1-line block ×3, first 2 shown]
	s_and_saveexec_b64 s[6:7], s[0:1]
	s_cbranch_execz .LBB8_4
; %bb.3:
	global_load_dwordx4 v[2:5], v13, s[4:5]
	s_waitcnt vmcnt(0)
	v_mov_b32_e32 v10, v3
	v_mov_b32_e32 v3, v4
	;; [unrolled: 1-line block ×3, first 2 shown]
.LBB8_4:
	s_or_b64 exec, exec, s[6:7]
	v_pk_add_f32 v[16:17], v[2:3], v[10:11]
	v_pk_add_f32 v[2:3], v[2:3], v[10:11] neg_lo:[0,1] neg_hi:[0,1]
	v_add_f32_e32 v18, v16, v17
	v_sub_f32_e32 v19, v16, v17
	v_add_f32_e32 v17, v2, v3
	v_sub_f32_e32 v20, v2, v3
	v_mbcnt_lo_u32_b32 v2, -1, 0
	v_mbcnt_hi_u32_b32 v21, -1, v2
	v_and_b32_e32 v2, 64, v21
	v_add_u32_e32 v22, 64, v2
	v_xor_b32_e32 v2, 1, v21
	v_cmp_lt_i32_e64 s[4:5], v2, v22
	v_pk_add_f32 v[4:5], v[8:9], v[6:7]
	v_pk_add_f32 v[6:7], v[8:9], v[6:7] neg_lo:[0,1] neg_hi:[0,1]
	v_and_b32_e32 v23, 1, v0
	v_cndmask_b32_e64 v2, v21, v2, s[4:5]
	v_mov_b32_e32 v8, v4
	v_mov_b32_e32 v9, v7
	v_pk_mov_b32 v[14:15], v[4:5], v[6:7] op_sel:[1,0]
	v_sub_f32_e32 v1, v4, v5
	v_lshlrev_b32_e32 v25, 2, v2
	v_cmp_eq_u32_e64 s[14:15], 0, v23
	v_sub_f32_e32 v16, v6, v7
	v_pk_add_f32 v[2:3], v[8:9], v[14:15]
	ds_bpermute_b32 v6, v25, v1
	v_cndmask_b32_e64 v14, -v1, v1, s[14:15]
	v_xor_b32_e32 v1, 2, v21
	v_cmp_lt_i32_e64 s[4:5], v1, v22
	ds_bpermute_b32 v7, v25, v16
	ds_bpermute_b32 v8, v25, v18
	v_cndmask_b32_e64 v1, v21, v1, s[4:5]
	ds_bpermute_b32 v10, v25, v19
	ds_bpermute_b32 v11, v25, v20
	v_cndmask_b32_e64 v15, -v16, v16, s[14:15]
	v_cndmask_b32_e64 v16, -v18, v18, s[14:15]
	v_cndmask_b32_e64 v18, -v19, v19, s[14:15]
	v_cndmask_b32_e64 v19, -v20, v20, s[14:15]
	v_lshlrev_b32_e32 v20, 2, v1
	v_xor_b32_e32 v1, 4, v21
	v_cmp_lt_i32_e64 s[4:5], v1, v22
	ds_bpermute_b32 v4, v25, v2
	ds_bpermute_b32 v5, v25, v3
	v_cndmask_b32_e64 v1, v21, v1, s[4:5]
	v_lshlrev_b32_e32 v26, 2, v1
	v_xor_b32_e32 v1, 8, v21
	v_cmp_lt_i32_e64 s[4:5], v1, v22
	v_and_b32_e32 v24, 2, v0
	v_and_b32_e32 v23, 4, v0
	v_cndmask_b32_e64 v1, v21, v1, s[4:5]
	v_lshlrev_b32_e32 v28, 2, v1
	v_xor_b32_e32 v1, 16, v21
	v_cmp_lt_i32_e64 s[4:5], v1, v22
	v_and_b32_e32 v27, 8, v0
	v_and_b32_e32 v29, 16, v0
	;; [unrolled: 6-line block ×3, first 2 shown]
	v_cndmask_b32_e64 v1, v21, v1, s[4:5]
	v_lshlrev_b32_e32 v21, 2, v1
	v_lshrrev_b32_e32 v1, 6, v0
	v_lshrrev_b32_e32 v32, 2, v0
	v_xor_b32_e32 v0, v1, v0
	v_cndmask_b32_e64 v3, -v3, v3, s[14:15]
	v_cndmask_b32_e64 v2, -v2, v2, s[14:15]
	v_lshl_add_u32 v33, v0, 4, 0
	v_lshlrev_b32_e32 v0, 6, v22
	v_bitop3_b32 v22, v0, v22, v32 bitop3:0x36
	s_waitcnt lgkmcnt(0)
	v_pk_add_f32 v[0:1], v[2:3], v[4:5]
	v_pk_add_f32 v[2:3], v[14:15], v[6:7]
	ds_bpermute_b32 v4, v20, v0
	ds_bpermute_b32 v5, v20, v1
	;; [unrolled: 1-line block ×4, first 2 shown]
	v_cmp_eq_u32_e64 s[4:5], 0, v24
	v_cmp_eq_u32_e64 s[6:7], 0, v23
	;; [unrolled: 1-line block ×3, first 2 shown]
	v_cndmask_b32_e64 v1, -v1, v1, s[4:5]
	v_cndmask_b32_e64 v0, -v0, v0, s[4:5]
	v_cndmask_b32_e64 v3, -v3, v3, s[4:5]
	v_cndmask_b32_e64 v2, -v2, v2, s[4:5]
	s_waitcnt lgkmcnt(2)
	v_pk_add_f32 v[0:1], v[0:1], v[4:5]
	s_waitcnt lgkmcnt(0)
	v_pk_add_f32 v[2:3], v[2:3], v[6:7]
	ds_bpermute_b32 v4, v26, v0
	ds_bpermute_b32 v5, v26, v1
	ds_bpermute_b32 v6, v26, v2
	ds_bpermute_b32 v7, v26, v3
	v_cndmask_b32_e64 v1, -v1, v1, s[6:7]
	v_cndmask_b32_e64 v0, -v0, v0, s[6:7]
	v_cndmask_b32_e64 v3, -v3, v3, s[6:7]
	v_cndmask_b32_e64 v2, -v2, v2, s[6:7]
	s_waitcnt lgkmcnt(2)
	v_pk_add_f32 v[0:1], v[0:1], v[4:5]
	s_waitcnt lgkmcnt(0)
	v_pk_add_f32 v[2:3], v[2:3], v[6:7]
	ds_bpermute_b32 v4, v28, v0
	ds_bpermute_b32 v5, v28, v1
	ds_bpermute_b32 v6, v28, v2
	ds_bpermute_b32 v7, v28, v3
	;; [unrolled: 12-line block ×3, first 2 shown]
	v_cmp_eq_u32_e64 s[10:11], 0, v29
	ds_bpermute_b32 v9, v25, v17
	v_cmp_eq_u32_e64 s[12:13], 0, v31
	v_cndmask_b32_e64 v1, -v1, v1, s[10:11]
	v_cndmask_b32_e64 v0, -v0, v0, s[10:11]
	;; [unrolled: 1-line block ×4, first 2 shown]
	s_waitcnt lgkmcnt(3)
	v_pk_add_f32 v[0:1], v[0:1], v[4:5]
	s_waitcnt lgkmcnt(1)
	v_pk_add_f32 v[2:3], v[2:3], v[6:7]
	ds_bpermute_b32 v4, v21, v0
	ds_bpermute_b32 v5, v21, v1
	;; [unrolled: 1-line block ×4, first 2 shown]
	v_cndmask_b32_e64 v1, -v1, v1, s[12:13]
	v_cndmask_b32_e64 v0, -v0, v0, s[12:13]
	v_cndmask_b32_e64 v3, -v3, v3, s[12:13]
	v_cndmask_b32_e64 v2, -v2, v2, s[12:13]
	v_cndmask_b32_e64 v17, -v17, v17, s[14:15]
	s_waitcnt lgkmcnt(2)
	v_pk_add_f32 v[0:1], v[0:1], v[4:5]
	s_waitcnt lgkmcnt(0)
	v_pk_add_f32 v[2:3], v[2:3], v[6:7]
	s_barrier
	ds_write_b128 v33, v[0:3]
	v_pk_add_f32 v[0:1], v[18:19], v[10:11]
	v_pk_add_f32 v[2:3], v[16:17], v[8:9]
	ds_bpermute_b32 v4, v20, v2
	ds_bpermute_b32 v5, v20, v3
	ds_bpermute_b32 v6, v20, v0
	ds_bpermute_b32 v7, v20, v1
	v_cndmask_b32_e64 v3, -v3, v3, s[4:5]
	v_cndmask_b32_e64 v2, -v2, v2, s[4:5]
	v_cndmask_b32_e64 v1, -v1, v1, s[4:5]
	v_cndmask_b32_e64 v0, -v0, v0, s[4:5]
	s_waitcnt lgkmcnt(0)
	v_pk_add_f32 v[0:1], v[0:1], v[6:7]
	v_pk_add_f32 v[2:3], v[2:3], v[4:5]
	ds_bpermute_b32 v4, v26, v2
	ds_bpermute_b32 v5, v26, v3
	ds_bpermute_b32 v6, v26, v0
	ds_bpermute_b32 v7, v26, v1
	v_cndmask_b32_e64 v3, -v3, v3, s[6:7]
	v_cndmask_b32_e64 v2, -v2, v2, s[6:7]
	v_cndmask_b32_e64 v1, -v1, v1, s[6:7]
	v_cndmask_b32_e64 v0, -v0, v0, s[6:7]
	s_waitcnt lgkmcnt(0)
	;; [unrolled: 11-line block ×5, first 2 shown]
	v_pk_add_f32 v[2:3], v[0:1], v[6:7]
	v_pk_add_f32 v[0:1], v[8:9], v[4:5]
	v_lshl_add_u32 v14, v22, 4, 0
	ds_write_b128 v33, v[0:3] offset:4096
	s_waitcnt lgkmcnt(0)
	s_barrier
	ds_read_b128 v[0:3], v14
	ds_read_b128 v[4:7], v14 offset:4096
	s_mul_i32 s3, s22, s3
	s_waitcnt lgkmcnt(0)
	s_barrier
	ds_bpermute_b32 v8, v25, v0
	ds_bpermute_b32 v9, v25, v1
	ds_bpermute_b32 v10, v25, v2
	ds_bpermute_b32 v11, v25, v3
	v_cndmask_b32_e64 v1, -v1, v1, s[14:15]
	v_cndmask_b32_e64 v0, -v0, v0, s[14:15]
	v_cndmask_b32_e64 v3, -v3, v3, s[14:15]
	v_cndmask_b32_e64 v2, -v2, v2, s[14:15]
	s_waitcnt lgkmcnt(0)
	v_pk_add_f32 v[2:3], v[2:3], v[10:11]
	v_pk_add_f32 v[0:1], v[0:1], v[8:9]
	ds_bpermute_b32 v8, v20, v0
	ds_bpermute_b32 v9, v20, v1
	ds_bpermute_b32 v10, v20, v2
	ds_bpermute_b32 v11, v20, v3
	v_cndmask_b32_e64 v1, -v1, v1, s[4:5]
	v_cndmask_b32_e64 v0, -v0, v0, s[4:5]
	v_cndmask_b32_e64 v3, -v3, v3, s[4:5]
	v_cndmask_b32_e64 v2, -v2, v2, s[4:5]
	s_waitcnt lgkmcnt(0)
	v_pk_add_f32 v[2:3], v[2:3], v[10:11]
	v_pk_add_f32 v[0:1], v[0:1], v[8:9]
	;; [unrolled: 11-line block ×4, first 2 shown]
	s_mul_hi_u32 s4, s22, s2
	ds_write_b128 v14, v[0:3]
	ds_write_b128 v14, v[4:7] offset:4096
	s_waitcnt lgkmcnt(0)
	s_barrier
	ds_read_b128 v[0:3], v33
	ds_read_b128 v[4:7], v33 offset:4096
	s_add_i32 s3, s4, s3
	s_mul_i32 s4, s23, s2
	s_add_i32 s3, s3, s4
	s_mul_i32 s2, s22, s2
	s_lshl_b64 s[2:3], s[2:3], 2
	s_add_u32 s2, s18, s2
	s_addc_u32 s3, s19, s3
	s_mov_b32 s17, s16
	s_and_saveexec_b64 s[4:5], vcc
	s_cbranch_execnz .LBB8_7
; %bb.5:
	s_or_b64 exec, exec, s[4:5]
	s_and_saveexec_b64 s[4:5], s[0:1]
	s_cbranch_execnz .LBB8_8
.LBB8_6:
	s_endpgm
.LBB8_7:
	s_waitcnt lgkmcnt(0)
	v_pk_add_f32 v[8:9], v[0:1], v[4:5]
	v_pk_add_f32 v[10:11], v[2:3], v[6:7]
	v_pk_mul_f32 v[8:9], s[16:17], v[8:9]
	v_pk_mul_f32 v[10:11], s[16:17], v[10:11]
	global_store_dwordx4 v12, v[8:11], s[2:3]
	s_or_b64 exec, exec, s[4:5]
	s_and_saveexec_b64 s[4:5], s[0:1]
	s_cbranch_execz .LBB8_6
.LBB8_8:
	s_waitcnt lgkmcnt(0)
	v_pk_add_f32 v[0:1], v[0:1], v[4:5] neg_lo:[0,1] neg_hi:[0,1]
	v_pk_add_f32 v[2:3], v[2:3], v[6:7] neg_lo:[0,1] neg_hi:[0,1]
	v_pk_mul_f32 v[0:1], s[16:17], v[0:1]
	v_pk_mul_f32 v[2:3], s[16:17], v[2:3]
	global_store_dwordx4 v13, v[0:3], s[2:3]
	s_endpgm
	.section	.rodata,"a",@progbits
	.p2align	6, 0x0
	.amdhsa_kernel _Z30fast_hadamard_transform_kernelI37fast_hadamard_transform_kernel_traitsILi256ELi11EfEEv18HadamardParamsBase
		.amdhsa_group_segment_fixed_size 0
		.amdhsa_private_segment_fixed_size 0
		.amdhsa_kernarg_size 312
		.amdhsa_user_sgpr_count 2
		.amdhsa_user_sgpr_dispatch_ptr 0
		.amdhsa_user_sgpr_queue_ptr 0
		.amdhsa_user_sgpr_kernarg_segment_ptr 1
		.amdhsa_user_sgpr_dispatch_id 0
		.amdhsa_user_sgpr_kernarg_preload_length 0
		.amdhsa_user_sgpr_kernarg_preload_offset 0
		.amdhsa_user_sgpr_private_segment_size 0
		.amdhsa_uses_dynamic_stack 0
		.amdhsa_enable_private_segment 0
		.amdhsa_system_sgpr_workgroup_id_x 1
		.amdhsa_system_sgpr_workgroup_id_y 0
		.amdhsa_system_sgpr_workgroup_id_z 0
		.amdhsa_system_sgpr_workgroup_info 0
		.amdhsa_system_vgpr_workitem_id 0
		.amdhsa_next_free_vgpr 34
		.amdhsa_next_free_sgpr 24
		.amdhsa_accum_offset 36
		.amdhsa_reserve_vcc 1
		.amdhsa_float_round_mode_32 0
		.amdhsa_float_round_mode_16_64 0
		.amdhsa_float_denorm_mode_32 3
		.amdhsa_float_denorm_mode_16_64 3
		.amdhsa_dx10_clamp 1
		.amdhsa_ieee_mode 1
		.amdhsa_fp16_overflow 0
		.amdhsa_tg_split 0
		.amdhsa_exception_fp_ieee_invalid_op 0
		.amdhsa_exception_fp_denorm_src 0
		.amdhsa_exception_fp_ieee_div_zero 0
		.amdhsa_exception_fp_ieee_overflow 0
		.amdhsa_exception_fp_ieee_underflow 0
		.amdhsa_exception_fp_ieee_inexact 0
		.amdhsa_exception_int_div_zero 0
	.end_amdhsa_kernel
	.section	.text._Z30fast_hadamard_transform_kernelI37fast_hadamard_transform_kernel_traitsILi256ELi11EfEEv18HadamardParamsBase,"axG",@progbits,_Z30fast_hadamard_transform_kernelI37fast_hadamard_transform_kernel_traitsILi256ELi11EfEEv18HadamardParamsBase,comdat
.Lfunc_end8:
	.size	_Z30fast_hadamard_transform_kernelI37fast_hadamard_transform_kernel_traitsILi256ELi11EfEEv18HadamardParamsBase, .Lfunc_end8-_Z30fast_hadamard_transform_kernelI37fast_hadamard_transform_kernel_traitsILi256ELi11EfEEv18HadamardParamsBase
                                        ; -- End function
	.set _Z30fast_hadamard_transform_kernelI37fast_hadamard_transform_kernel_traitsILi256ELi11EfEEv18HadamardParamsBase.num_vgpr, 34
	.set _Z30fast_hadamard_transform_kernelI37fast_hadamard_transform_kernel_traitsILi256ELi11EfEEv18HadamardParamsBase.num_agpr, 0
	.set _Z30fast_hadamard_transform_kernelI37fast_hadamard_transform_kernel_traitsILi256ELi11EfEEv18HadamardParamsBase.numbered_sgpr, 24
	.set _Z30fast_hadamard_transform_kernelI37fast_hadamard_transform_kernel_traitsILi256ELi11EfEEv18HadamardParamsBase.num_named_barrier, 0
	.set _Z30fast_hadamard_transform_kernelI37fast_hadamard_transform_kernel_traitsILi256ELi11EfEEv18HadamardParamsBase.private_seg_size, 0
	.set _Z30fast_hadamard_transform_kernelI37fast_hadamard_transform_kernel_traitsILi256ELi11EfEEv18HadamardParamsBase.uses_vcc, 1
	.set _Z30fast_hadamard_transform_kernelI37fast_hadamard_transform_kernel_traitsILi256ELi11EfEEv18HadamardParamsBase.uses_flat_scratch, 0
	.set _Z30fast_hadamard_transform_kernelI37fast_hadamard_transform_kernel_traitsILi256ELi11EfEEv18HadamardParamsBase.has_dyn_sized_stack, 0
	.set _Z30fast_hadamard_transform_kernelI37fast_hadamard_transform_kernel_traitsILi256ELi11EfEEv18HadamardParamsBase.has_recursion, 0
	.set _Z30fast_hadamard_transform_kernelI37fast_hadamard_transform_kernel_traitsILi256ELi11EfEEv18HadamardParamsBase.has_indirect_call, 0
	.section	.AMDGPU.csdata,"",@progbits
; Kernel info:
; codeLenInByte = 2212
; TotalNumSgprs: 30
; NumVgprs: 34
; NumAgprs: 0
; TotalNumVgprs: 34
; ScratchSize: 0
; MemoryBound: 0
; FloatMode: 240
; IeeeMode: 1
; LDSByteSize: 0 bytes/workgroup (compile time only)
; SGPRBlocks: 3
; VGPRBlocks: 4
; NumSGPRsForWavesPerEU: 30
; NumVGPRsForWavesPerEU: 34
; AccumOffset: 36
; Occupancy: 8
; WaveLimiterHint : 0
; COMPUTE_PGM_RSRC2:SCRATCH_EN: 0
; COMPUTE_PGM_RSRC2:USER_SGPR: 2
; COMPUTE_PGM_RSRC2:TRAP_HANDLER: 0
; COMPUTE_PGM_RSRC2:TGID_X_EN: 1
; COMPUTE_PGM_RSRC2:TGID_Y_EN: 0
; COMPUTE_PGM_RSRC2:TGID_Z_EN: 0
; COMPUTE_PGM_RSRC2:TIDIG_COMP_CNT: 0
; COMPUTE_PGM_RSRC3_GFX90A:ACCUM_OFFSET: 8
; COMPUTE_PGM_RSRC3_GFX90A:TG_SPLIT: 0
	.section	.text._Z30fast_hadamard_transform_kernelI37fast_hadamard_transform_kernel_traitsILi256ELi12EfEEv18HadamardParamsBase,"axG",@progbits,_Z30fast_hadamard_transform_kernelI37fast_hadamard_transform_kernel_traitsILi256ELi12EfEEv18HadamardParamsBase,comdat
	.protected	_Z30fast_hadamard_transform_kernelI37fast_hadamard_transform_kernel_traitsILi256ELi12EfEEv18HadamardParamsBase ; -- Begin function _Z30fast_hadamard_transform_kernelI37fast_hadamard_transform_kernel_traitsILi256ELi12EfEEv18HadamardParamsBase
	.globl	_Z30fast_hadamard_transform_kernelI37fast_hadamard_transform_kernel_traitsILi256ELi12EfEEv18HadamardParamsBase
	.p2align	8
	.type	_Z30fast_hadamard_transform_kernelI37fast_hadamard_transform_kernel_traitsILi256ELi12EfEEv18HadamardParamsBase,@function
_Z30fast_hadamard_transform_kernelI37fast_hadamard_transform_kernel_traitsILi256ELi12EfEEv18HadamardParamsBase: ; @_Z30fast_hadamard_transform_kernelI37fast_hadamard_transform_kernel_traitsILi256ELi12EfEEv18HadamardParamsBase
; %bb.0:
	s_load_dwordx4 s[24:27], s[0:1], 0x10
	s_load_dword s8, s[0:1], 0x4
	s_load_dwordx4 s[20:23], s[0:1], 0x28
	s_ashr_i32 s3, s2, 31
	s_load_dword s9, s[0:1], 0x44
	s_waitcnt lgkmcnt(0)
	s_mul_hi_u32 s4, s24, s2
	s_mul_i32 s5, s24, s3
	s_add_i32 s4, s4, s5
	s_mul_i32 s5, s25, s2
	s_add_i32 s5, s4, s5
	s_mul_i32 s4, s24, s2
	s_lshl_b64 s[4:5], s[4:5], 2
	s_add_u32 s6, s20, s4
	v_lshlrev_b32_e32 v1, 2, v0
	s_addc_u32 s7, s21, s5
	v_cmp_gt_u32_e32 vcc, s8, v1
	v_mov_b32_e32 v16, 0
	v_lshlrev_b32_e32 v24, 4, v0
	v_mov_b32_e32 v18, 0
	v_mov_b32_e32 v19, 0
	;; [unrolled: 1-line block ×4, first 2 shown]
	s_and_saveexec_b64 s[4:5], vcc
	s_cbranch_execz .LBB9_2
; %bb.1:
	global_load_dwordx4 v[2:5], v24, s[6:7]
	s_waitcnt vmcnt(0)
	v_mov_b32_e32 v18, v2
	v_mov_b32_e32 v19, v4
	;; [unrolled: 1-line block ×3, first 2 shown]
.LBB9_2:
	s_or_b64 exec, exec, s[4:5]
	s_and_b32 s9, 0xffff, s9
	v_add_u32_e32 v1, s9, v0
	v_lshlrev_b32_e32 v2, 2, v1
	v_cmp_gt_u32_e64 s[18:19], s8, v2
	v_lshlrev_b32_e32 v25, 4, v1
	v_mov_b32_e32 v17, 0
	v_mov_b32_e32 v8, 0
	;; [unrolled: 1-line block ×3, first 2 shown]
	s_and_saveexec_b64 s[4:5], s[18:19]
	s_cbranch_execz .LBB9_4
; %bb.3:
	global_load_dwordx4 v[6:9], v25, s[6:7]
	s_waitcnt vmcnt(0)
	v_mov_b32_e32 v16, v6
	v_mov_b32_e32 v17, v8
	;; [unrolled: 1-line block ×3, first 2 shown]
.LBB9_4:
	s_or_b64 exec, exec, s[4:5]
	v_add_u32_e32 v1, s9, v1
	v_lshlrev_b32_e32 v2, 2, v1
	v_cmp_gt_u32_e64 s[20:21], s8, v2
	v_mov_b32_e32 v10, 0
	v_lshlrev_b32_e32 v26, 4, v1
	v_mov_b32_e32 v2, 0
	v_mov_b32_e32 v3, 0
	;; [unrolled: 1-line block ×4, first 2 shown]
	s_and_saveexec_b64 s[4:5], s[20:21]
	s_cbranch_execz .LBB9_6
; %bb.5:
	global_load_dwordx4 v[12:15], v26, s[6:7]
	s_waitcnt vmcnt(0)
	v_mov_b32_e32 v2, v12
	v_mov_b32_e32 v3, v14
	;; [unrolled: 1-line block ×3, first 2 shown]
.LBB9_6:
	s_or_b64 exec, exec, s[4:5]
	s_load_dword s24, s[0:1], 0x20
	v_add_u32_e32 v1, s9, v1
	v_lshlrev_b32_e32 v6, 2, v1
	v_cmp_gt_u32_e64 s[4:5], s8, v6
	v_lshlrev_b32_e32 v27, 4, v1
	v_mov_b32_e32 v6, 0
	v_mov_b32_e32 v11, 0
	;; [unrolled: 1-line block ×3, first 2 shown]
	s_and_saveexec_b64 s[0:1], s[4:5]
	s_cbranch_execz .LBB9_8
; %bb.7:
	global_load_dwordx4 v[10:13], v27, s[6:7]
	s_waitcnt vmcnt(0)
	v_mov_b32_e32 v6, v11
	v_mov_b32_e32 v11, v12
	;; [unrolled: 1-line block ×3, first 2 shown]
.LBB9_8:
	s_or_b64 exec, exec, s[0:1]
	v_mbcnt_lo_u32_b32 v1, -1, 0
	v_mbcnt_hi_u32_b32 v45, -1, v1
	v_pk_add_f32 v[12:13], v[18:19], v[4:5]
	v_pk_add_f32 v[4:5], v[18:19], v[4:5] neg_lo:[0,1] neg_hi:[0,1]
	v_and_b32_e32 v1, 64, v45
	v_mov_b32_e32 v18, v12
	v_mov_b32_e32 v19, v5
	v_pk_mov_b32 v[20:21], v[12:13], v[4:5] op_sel:[1,0]
	v_pk_add_f32 v[22:23], v[16:17], v[8:9]
	v_pk_add_f32 v[8:9], v[16:17], v[8:9] neg_lo:[0,1] neg_hi:[0,1]
	v_pk_add_f32 v[30:31], v[2:3], v[14:15]
	v_pk_add_f32 v[2:3], v[2:3], v[14:15] neg_lo:[0,1] neg_hi:[0,1]
	v_add_u32_e32 v46, 64, v1
	v_xor_b32_e32 v1, 1, v45
	v_pk_mov_b32 v[28:29], v[22:23], v[8:9] op_sel:[1,0]
	v_mov_b32_e32 v15, v3
	v_pk_mov_b32 v[32:33], v[30:31], v[2:3] op_sel:[1,0]
	v_sub_f32_e32 v4, v4, v5
	v_sub_f32_e32 v5, v8, v9
	;; [unrolled: 1-line block ×3, first 2 shown]
	v_cmp_lt_i32_e64 s[0:1], v1, v46
	v_pk_add_f32 v[2:3], v[18:19], v[20:21]
	v_xor_b32_e32 v18, 2, v45
	v_pk_add_f32 v[34:35], v[10:11], v[6:7]
	v_pk_add_f32 v[6:7], v[10:11], v[6:7] neg_lo:[0,1] neg_hi:[0,1]
	v_cndmask_b32_e64 v1, v45, v1, s[0:1]
	v_cmp_lt_i32_e64 s[0:1], v18, v46
	v_mov_b32_e32 v17, v9
	v_add_f32_e32 v9, v6, v7
	v_sub_f32_e32 v44, v6, v7
	v_and_b32_e32 v6, 1, v0
	v_cndmask_b32_e64 v18, v45, v18, s[0:1]
	v_mov_b32_e32 v16, v22
	v_lshlrev_b32_e32 v1, 2, v1
	v_cmp_eq_u32_e64 s[6:7], 0, v6
	v_lshlrev_b32_e32 v19, 2, v18
	v_xor_b32_e32 v18, 4, v45
	v_mov_b32_e32 v14, v30
	v_sub_f32_e32 v11, v22, v23
	ds_bpermute_b32 v20, v1, v2
	ds_bpermute_b32 v21, v1, v3
	v_cndmask_b32_e64 v23, -v3, v3, s[6:7]
	v_cndmask_b32_e64 v22, -v2, v2, s[6:7]
	v_pk_add_f32 v[2:3], v[16:17], v[28:29]
	v_cmp_lt_i32_e64 s[0:1], v18, v46
	ds_bpermute_b32 v28, v1, v2
	ds_bpermute_b32 v29, v1, v3
	v_cndmask_b32_e64 v37, -v3, v3, s[6:7]
	v_cndmask_b32_e64 v36, -v2, v2, s[6:7]
	v_pk_add_f32 v[2:3], v[14:15], v[32:33]
	v_cndmask_b32_e64 v18, v45, v18, s[0:1]
	ds_bpermute_b32 v39, v1, v5
	v_cndmask_b32_e64 v41, -v5, v5, s[6:7]
	ds_bpermute_b32 v15, v1, v3
	v_cndmask_b32_e64 v17, -v3, v3, s[6:7]
	;; [unrolled: 2-line block ×4, first 2 shown]
	v_lshlrev_b32_e32 v44, 2, v18
	v_xor_b32_e32 v18, 8, v45
	v_cmp_lt_i32_e64 s[0:1], v18, v46
	v_sub_f32_e32 v10, v12, v13
	v_sub_f32_e32 v12, v30, v31
	v_cndmask_b32_e64 v18, v45, v18, s[0:1]
	v_lshlrev_b32_e32 v48, 2, v18
	v_xor_b32_e32 v18, 16, v45
	v_cmp_lt_i32_e64 s[0:1], v18, v46
	ds_bpermute_b32 v30, v1, v10
	ds_bpermute_b32 v31, v1, v4
	v_cndmask_b32_e64 v18, v45, v18, s[0:1]
	v_lshlrev_b32_e32 v50, 2, v18
	v_xor_b32_e32 v18, 32, v45
	v_cmp_lt_i32_e64 s[0:1], v18, v46
	v_add_f32_e32 v42, v34, v35
	v_sub_f32_e32 v43, v34, v35
	v_cndmask_b32_e64 v18, v45, v18, s[0:1]
	v_lshlrev_b32_e32 v45, 2, v18
	v_lshrrev_b32_e32 v18, 6, v0
	v_cndmask_b32_e64 v34, -v10, v10, s[6:7]
	v_cndmask_b32_e64 v35, -v4, v4, s[6:7]
	ds_bpermute_b32 v38, v1, v11
	v_cndmask_b32_e64 v40, -v11, v11, s[6:7]
	ds_bpermute_b32 v14, v1, v2
	;; [unrolled: 2-line block ×5, first 2 shown]
	v_cndmask_b32_e64 v8, -v43, v43, s[6:7]
	v_and_b32_e32 v42, 2, v0
	v_and_b32_e32 v43, 4, v0
	;; [unrolled: 1-line block ×6, first 2 shown]
	v_lshrrev_b32_e32 v33, 2, v0
	v_xor_b32_e32 v0, v18, v0
	v_lshl_add_u32 v18, v0, 4, 0
	v_lshlrev_b32_e32 v0, 6, v32
	s_waitcnt lgkmcnt(0)
	v_pk_add_f32 v[20:21], v[22:23], v[20:21]
	v_pk_add_f32 v[22:23], v[34:35], v[30:31]
	v_bitop3_b32 v0, v0, v32, v33 bitop3:0x36
	ds_bpermute_b32 v30, v19, v20
	ds_bpermute_b32 v31, v19, v21
	;; [unrolled: 1-line block ×4, first 2 shown]
	v_cmp_eq_u32_e64 s[8:9], 0, v42
	v_cmp_eq_u32_e64 s[10:11], 0, v43
	;; [unrolled: 1-line block ×3, first 2 shown]
	v_cndmask_b32_e64 v21, -v21, v21, s[8:9]
	v_cndmask_b32_e64 v20, -v20, v20, s[8:9]
	v_cndmask_b32_e64 v23, -v23, v23, s[8:9]
	v_cndmask_b32_e64 v22, -v22, v22, s[8:9]
	s_waitcnt lgkmcnt(2)
	v_pk_add_f32 v[20:21], v[20:21], v[30:31]
	s_waitcnt lgkmcnt(0)
	v_pk_add_f32 v[22:23], v[22:23], v[32:33]
	ds_bpermute_b32 v30, v44, v20
	ds_bpermute_b32 v31, v44, v21
	ds_bpermute_b32 v32, v44, v22
	ds_bpermute_b32 v33, v44, v23
	v_cndmask_b32_e64 v21, -v21, v21, s[10:11]
	v_cndmask_b32_e64 v20, -v20, v20, s[10:11]
	v_cndmask_b32_e64 v23, -v23, v23, s[10:11]
	v_cndmask_b32_e64 v22, -v22, v22, s[10:11]
	s_waitcnt lgkmcnt(2)
	v_pk_add_f32 v[20:21], v[20:21], v[30:31]
	s_waitcnt lgkmcnt(0)
	v_pk_add_f32 v[22:23], v[22:23], v[32:33]
	ds_bpermute_b32 v30, v48, v20
	ds_bpermute_b32 v31, v48, v21
	ds_bpermute_b32 v32, v48, v22
	ds_bpermute_b32 v33, v48, v23
	;; [unrolled: 12-line block ×3, first 2 shown]
	v_cmp_eq_u32_e64 s[14:15], 0, v49
	ds_bpermute_b32 v10, v1, v12
	v_cmp_eq_u32_e64 s[16:17], 0, v51
	v_cndmask_b32_e64 v21, -v21, v21, s[14:15]
	v_cndmask_b32_e64 v20, -v20, v20, s[14:15]
	;; [unrolled: 1-line block ×4, first 2 shown]
	s_waitcnt lgkmcnt(3)
	v_pk_add_f32 v[20:21], v[20:21], v[30:31]
	s_waitcnt lgkmcnt(1)
	v_pk_add_f32 v[22:23], v[22:23], v[32:33]
	ds_bpermute_b32 v30, v45, v20
	ds_bpermute_b32 v31, v45, v21
	;; [unrolled: 1-line block ×4, first 2 shown]
	v_cndmask_b32_e64 v21, -v21, v21, s[16:17]
	v_cndmask_b32_e64 v20, -v20, v20, s[16:17]
	;; [unrolled: 1-line block ×4, first 2 shown]
	s_waitcnt lgkmcnt(2)
	v_pk_add_f32 v[20:21], v[20:21], v[30:31]
	s_waitcnt lgkmcnt(0)
	v_pk_add_f32 v[22:23], v[22:23], v[32:33]
	s_barrier
	ds_write_b128 v18, v[20:23]
	v_pk_add_f32 v[20:21], v[36:37], v[28:29]
	v_pk_add_f32 v[22:23], v[40:41], v[38:39]
	v_cndmask_b32_e64 v12, -v12, v12, s[6:7]
	ds_bpermute_b32 v28, v19, v20
	ds_bpermute_b32 v29, v19, v21
	;; [unrolled: 1-line block ×4, first 2 shown]
	v_pk_add_f32 v[14:15], v[16:17], v[14:15]
	v_pk_add_f32 v[10:11], v[12:13], v[10:11]
	;; [unrolled: 1-line block ×4, first 2 shown]
	ds_bpermute_b32 v12, v19, v14
	ds_bpermute_b32 v13, v19, v15
	ds_bpermute_b32 v16, v19, v10
	ds_bpermute_b32 v17, v19, v11
	ds_bpermute_b32 v4, v19, v2
	ds_bpermute_b32 v5, v19, v3
	ds_bpermute_b32 v8, v19, v6
	ds_bpermute_b32 v9, v19, v7
	v_cndmask_b32_e64 v21, -v21, v21, s[8:9]
	v_cndmask_b32_e64 v20, -v20, v20, s[8:9]
	v_cndmask_b32_e64 v23, -v23, v23, s[8:9]
	v_cndmask_b32_e64 v22, -v22, v22, s[8:9]
	s_waitcnt lgkmcnt(10)
	v_pk_add_f32 v[20:21], v[20:21], v[28:29]
	s_waitcnt lgkmcnt(8)
	v_pk_add_f32 v[22:23], v[22:23], v[30:31]
	ds_bpermute_b32 v28, v44, v20
	ds_bpermute_b32 v29, v44, v21
	ds_bpermute_b32 v30, v44, v22
	ds_bpermute_b32 v31, v44, v23
	v_cndmask_b32_e64 v15, -v15, v15, s[8:9]
	v_cndmask_b32_e64 v14, -v14, v14, s[8:9]
	v_cndmask_b32_e64 v11, -v11, v11, s[8:9]
	v_cndmask_b32_e64 v10, -v10, v10, s[8:9]
	v_cndmask_b32_e64 v3, -v3, v3, s[8:9]
	v_cndmask_b32_e64 v2, -v2, v2, s[8:9]
	v_cndmask_b32_e64 v7, -v7, v7, s[8:9]
	v_cndmask_b32_e64 v6, -v6, v6, s[8:9]
	s_waitcnt lgkmcnt(10)
	v_pk_add_f32 v[12:13], v[14:15], v[12:13]
	s_waitcnt lgkmcnt(8)
	v_pk_add_f32 v[10:11], v[10:11], v[16:17]
	s_waitcnt lgkmcnt(4)
	v_pk_add_f32 v[6:7], v[6:7], v[8:9]
	v_pk_add_f32 v[2:3], v[2:3], v[4:5]
	ds_bpermute_b32 v14, v44, v12
	ds_bpermute_b32 v15, v44, v13
	ds_bpermute_b32 v16, v44, v10
	ds_bpermute_b32 v17, v44, v11
	ds_bpermute_b32 v4, v44, v2
	ds_bpermute_b32 v5, v44, v3
	ds_bpermute_b32 v8, v44, v6
	ds_bpermute_b32 v9, v44, v7
	v_cndmask_b32_e64 v21, -v21, v21, s[10:11]
	v_cndmask_b32_e64 v20, -v20, v20, s[10:11]
	v_cndmask_b32_e64 v23, -v23, v23, s[10:11]
	v_cndmask_b32_e64 v22, -v22, v22, s[10:11]
	s_waitcnt lgkmcnt(10)
	v_pk_add_f32 v[20:21], v[20:21], v[28:29]
	s_waitcnt lgkmcnt(8)
	v_pk_add_f32 v[22:23], v[22:23], v[30:31]
	ds_bpermute_b32 v28, v48, v20
	ds_bpermute_b32 v29, v48, v21
	ds_bpermute_b32 v30, v48, v22
	ds_bpermute_b32 v31, v48, v23
	v_cndmask_b32_e64 v13, -v13, v13, s[10:11]
	v_cndmask_b32_e64 v12, -v12, v12, s[10:11]
	v_cndmask_b32_e64 v11, -v11, v11, s[10:11]
	v_cndmask_b32_e64 v10, -v10, v10, s[10:11]
	v_cndmask_b32_e64 v3, -v3, v3, s[10:11]
	v_cndmask_b32_e64 v2, -v2, v2, s[10:11]
	v_cndmask_b32_e64 v7, -v7, v7, s[10:11]
	v_cndmask_b32_e64 v6, -v6, v6, s[10:11]
	s_waitcnt lgkmcnt(10)
	v_pk_add_f32 v[12:13], v[12:13], v[14:15]
	s_waitcnt lgkmcnt(8)
	v_pk_add_f32 v[10:11], v[10:11], v[16:17]
	s_waitcnt lgkmcnt(4)
	v_pk_add_f32 v[6:7], v[6:7], v[8:9]
	v_pk_add_f32 v[2:3], v[2:3], v[4:5]
	;; [unrolled: 35-line block ×4, first 2 shown]
	ds_bpermute_b32 v14, v45, v12
	ds_bpermute_b32 v15, v45, v13
	;; [unrolled: 1-line block ×8, first 2 shown]
	v_cndmask_b32_e64 v21, -v21, v21, s[16:17]
	v_cndmask_b32_e64 v20, -v20, v20, s[16:17]
	;; [unrolled: 1-line block ×4, first 2 shown]
	s_waitcnt lgkmcnt(10)
	v_pk_add_f32 v[20:21], v[20:21], v[28:29]
	s_waitcnt lgkmcnt(8)
	v_pk_add_f32 v[22:23], v[22:23], v[30:31]
	ds_write_b128 v18, v[20:23] offset:4096
	v_cndmask_b32_e64 v13, -v13, v13, s[16:17]
	v_cndmask_b32_e64 v12, -v12, v12, s[16:17]
	v_cndmask_b32_e64 v21, -v11, v11, s[16:17]
	v_cndmask_b32_e64 v20, -v10, v10, s[16:17]
	v_cndmask_b32_e64 v3, -v3, v3, s[16:17]
	v_cndmask_b32_e64 v2, -v2, v2, s[16:17]
	v_cndmask_b32_e64 v7, -v7, v7, s[16:17]
	v_cndmask_b32_e64 v6, -v6, v6, s[16:17]
	s_waitcnt lgkmcnt(7)
	v_pk_add_f32 v[10:11], v[12:13], v[14:15]
	s_waitcnt lgkmcnt(5)
	v_pk_add_f32 v[12:13], v[20:21], v[16:17]
	s_waitcnt lgkmcnt(1)
	v_pk_add_f32 v[4:5], v[6:7], v[4:5]
	v_pk_add_f32 v[2:3], v[2:3], v[8:9]
	v_lshl_add_u32 v28, v0, 4, 0
	ds_write_b128 v18, v[10:13] offset:8192
	ds_write_b128 v18, v[2:5] offset:12288
	s_waitcnt lgkmcnt(0)
	s_barrier
	ds_read_b128 v[2:5], v28
	ds_read_b128 v[6:9], v28 offset:4096
	s_mul_i32 s0, s26, s3
	s_mul_hi_u32 s1, s26, s2
	s_add_i32 s0, s1, s0
	s_waitcnt lgkmcnt(1)
	ds_bpermute_b32 v10, v1, v2
	ds_bpermute_b32 v11, v1, v3
	ds_bpermute_b32 v12, v1, v4
	ds_bpermute_b32 v13, v1, v5
	v_cndmask_b32_e64 v3, -v3, v3, s[6:7]
	v_cndmask_b32_e64 v2, -v2, v2, s[6:7]
	v_cndmask_b32_e64 v5, -v5, v5, s[6:7]
	v_cndmask_b32_e64 v4, -v4, v4, s[6:7]
	s_waitcnt lgkmcnt(0)
	v_pk_add_f32 v[4:5], v[4:5], v[12:13]
	v_pk_add_f32 v[2:3], v[2:3], v[10:11]
	ds_bpermute_b32 v10, v19, v2
	ds_bpermute_b32 v11, v19, v3
	ds_bpermute_b32 v12, v19, v4
	ds_bpermute_b32 v13, v19, v5
	v_cndmask_b32_e64 v3, -v3, v3, s[8:9]
	v_cndmask_b32_e64 v2, -v2, v2, s[8:9]
	v_cndmask_b32_e64 v5, -v5, v5, s[8:9]
	v_cndmask_b32_e64 v4, -v4, v4, s[8:9]
	s_waitcnt lgkmcnt(0)
	v_pk_add_f32 v[4:5], v[4:5], v[12:13]
	v_pk_add_f32 v[2:3], v[2:3], v[10:11]
	;; [unrolled: 11-line block ×3, first 2 shown]
	ds_bpermute_b32 v10, v19, v6
	ds_bpermute_b32 v11, v19, v7
	ds_bpermute_b32 v14, v19, v12
	ds_bpermute_b32 v15, v19, v13
	v_cndmask_b32_e64 v17, -v7, v7, s[8:9]
	v_cndmask_b32_e64 v16, -v6, v6, s[8:9]
	ds_read_b128 v[6:9], v28 offset:8192
	v_cndmask_b32_e64 v13, -v13, v13, s[8:9]
	v_cndmask_b32_e64 v12, -v12, v12, s[8:9]
	s_waitcnt lgkmcnt(1)
	v_pk_add_f32 v[12:13], v[12:13], v[14:15]
	v_pk_add_f32 v[10:11], v[16:17], v[10:11]
	ds_read_b128 v[14:17], v28 offset:12288
	s_waitcnt lgkmcnt(1)
	ds_bpermute_b32 v20, v1, v6
	ds_bpermute_b32 v21, v1, v7
	v_cndmask_b32_e64 v7, -v7, v7, s[6:7]
	v_cndmask_b32_e64 v6, -v6, v6, s[6:7]
	ds_bpermute_b32 v22, v1, v8
	ds_bpermute_b32 v23, v1, v9
	s_waitcnt lgkmcnt(2)
	v_pk_add_f32 v[6:7], v[6:7], v[20:21]
	ds_bpermute_b32 v20, v19, v6
	ds_bpermute_b32 v21, v19, v7
	v_cndmask_b32_e64 v7, -v7, v7, s[8:9]
	v_cndmask_b32_e64 v6, -v6, v6, s[8:9]
	ds_bpermute_b32 v0, v1, v16
	v_cndmask_b32_e64 v9, -v9, v9, s[6:7]
	s_waitcnt lgkmcnt(1)
	v_pk_add_f32 v[6:7], v[6:7], v[20:21]
	ds_bpermute_b32 v20, v1, v14
	ds_bpermute_b32 v21, v1, v15
	;; [unrolled: 1-line block ×3, first 2 shown]
	v_cndmask_b32_e64 v8, -v8, v8, s[6:7]
	v_cndmask_b32_e64 v15, -v15, v15, s[6:7]
	v_cndmask_b32_e64 v14, -v14, v14, s[6:7]
	v_pk_add_f32 v[8:9], v[8:9], v[22:23]
	v_cndmask_b32_e64 v17, -v17, v17, s[6:7]
	v_cndmask_b32_e64 v16, -v16, v16, s[6:7]
	s_waitcnt lgkmcnt(1)
	v_pk_add_f32 v[14:15], v[14:15], v[20:21]
	ds_bpermute_b32 v22, v19, v8
	ds_bpermute_b32 v23, v19, v9
	s_waitcnt lgkmcnt(2)
	v_pk_add_f32 v[0:1], v[16:17], v[0:1]
	ds_bpermute_b32 v20, v19, v14
	ds_bpermute_b32 v21, v19, v15
	;; [unrolled: 1-line block ×4, first 2 shown]
	v_cndmask_b32_e64 v9, -v9, v9, s[8:9]
	v_cndmask_b32_e64 v8, -v8, v8, s[8:9]
	;; [unrolled: 1-line block ×4, first 2 shown]
	s_waitcnt lgkmcnt(4)
	v_pk_add_f32 v[8:9], v[8:9], v[22:23]
	v_cndmask_b32_e64 v1, -v1, v1, s[8:9]
	v_cndmask_b32_e64 v0, -v0, v0, s[8:9]
	s_waitcnt lgkmcnt(2)
	v_pk_add_f32 v[14:15], v[14:15], v[20:21]
	s_waitcnt lgkmcnt(0)
	v_pk_add_f32 v[16:17], v[0:1], v[16:17]
	s_barrier
	ds_write_b128 v28, v[2:5]
	ds_write_b128 v28, v[10:13] offset:4096
	ds_write_b128 v28, v[6:9] offset:8192
	;; [unrolled: 1-line block ×3, first 2 shown]
	s_waitcnt lgkmcnt(0)
	s_barrier
	ds_read_b128 v[0:3], v18
	ds_read_b128 v[4:7], v18 offset:4096
	ds_read_b128 v[8:11], v18 offset:8192
	;; [unrolled: 1-line block ×3, first 2 shown]
	s_mul_i32 s1, s27, s2
	s_add_i32 s1, s0, s1
	s_mul_i32 s0, s26, s2
	s_lshl_b64 s[0:1], s[0:1], 2
	s_add_u32 s0, s22, s0
	s_waitcnt lgkmcnt(2)
	v_pk_add_f32 v[16:17], v[0:1], v[4:5]
	s_waitcnt lgkmcnt(0)
	v_pk_add_f32 v[18:19], v[8:9], v[12:13]
	v_pk_add_f32 v[20:21], v[2:3], v[6:7]
	;; [unrolled: 1-line block ×3, first 2 shown]
	s_addc_u32 s1, s23, s1
	s_mov_b32 s25, s24
	s_and_saveexec_b64 s[2:3], vcc
	s_cbranch_execz .LBB9_10
; %bb.9:
	v_pk_add_f32 v[28:29], v[16:17], v[18:19]
	v_pk_add_f32 v[30:31], v[20:21], v[22:23]
	v_pk_mul_f32 v[28:29], s[24:25], v[28:29]
	v_pk_mul_f32 v[30:31], s[24:25], v[30:31]
	global_store_dwordx4 v24, v[28:31], s[0:1]
.LBB9_10:
	s_or_b64 exec, exec, s[2:3]
	v_pk_add_f32 v[0:1], v[0:1], v[4:5] neg_lo:[0,1] neg_hi:[0,1]
	v_pk_add_f32 v[4:5], v[8:9], v[12:13] neg_lo:[0,1] neg_hi:[0,1]
	;; [unrolled: 1-line block ×4, first 2 shown]
	s_and_saveexec_b64 s[2:3], s[18:19]
	s_cbranch_execnz .LBB9_14
; %bb.11:
	s_or_b64 exec, exec, s[2:3]
	s_and_saveexec_b64 s[2:3], s[20:21]
	s_cbranch_execnz .LBB9_15
.LBB9_12:
	s_or_b64 exec, exec, s[2:3]
	s_and_saveexec_b64 s[2:3], s[4:5]
	s_cbranch_execnz .LBB9_16
.LBB9_13:
	s_endpgm
.LBB9_14:
	v_pk_add_f32 v[8:9], v[0:1], v[4:5]
	v_pk_add_f32 v[10:11], v[2:3], v[6:7]
	v_pk_mul_f32 v[8:9], s[24:25], v[8:9]
	v_pk_mul_f32 v[10:11], s[24:25], v[10:11]
	global_store_dwordx4 v25, v[8:11], s[0:1]
	s_or_b64 exec, exec, s[2:3]
	s_and_saveexec_b64 s[2:3], s[20:21]
	s_cbranch_execz .LBB9_12
.LBB9_15:
	v_pk_add_f32 v[8:9], v[16:17], v[18:19] neg_lo:[0,1] neg_hi:[0,1]
	v_pk_add_f32 v[10:11], v[20:21], v[22:23] neg_lo:[0,1] neg_hi:[0,1]
	v_pk_mul_f32 v[8:9], s[24:25], v[8:9]
	v_pk_mul_f32 v[10:11], s[24:25], v[10:11]
	global_store_dwordx4 v26, v[8:11], s[0:1]
	s_or_b64 exec, exec, s[2:3]
	s_and_saveexec_b64 s[2:3], s[4:5]
	s_cbranch_execz .LBB9_13
.LBB9_16:
	v_pk_add_f32 v[0:1], v[0:1], v[4:5] neg_lo:[0,1] neg_hi:[0,1]
	v_pk_add_f32 v[2:3], v[2:3], v[6:7] neg_lo:[0,1] neg_hi:[0,1]
	v_pk_mul_f32 v[0:1], s[24:25], v[0:1]
	v_pk_mul_f32 v[2:3], s[24:25], v[2:3]
	global_store_dwordx4 v27, v[0:3], s[0:1]
	s_endpgm
	.section	.rodata,"a",@progbits
	.p2align	6, 0x0
	.amdhsa_kernel _Z30fast_hadamard_transform_kernelI37fast_hadamard_transform_kernel_traitsILi256ELi12EfEEv18HadamardParamsBase
		.amdhsa_group_segment_fixed_size 0
		.amdhsa_private_segment_fixed_size 0
		.amdhsa_kernarg_size 312
		.amdhsa_user_sgpr_count 2
		.amdhsa_user_sgpr_dispatch_ptr 0
		.amdhsa_user_sgpr_queue_ptr 0
		.amdhsa_user_sgpr_kernarg_segment_ptr 1
		.amdhsa_user_sgpr_dispatch_id 0
		.amdhsa_user_sgpr_kernarg_preload_length 0
		.amdhsa_user_sgpr_kernarg_preload_offset 0
		.amdhsa_user_sgpr_private_segment_size 0
		.amdhsa_uses_dynamic_stack 0
		.amdhsa_enable_private_segment 0
		.amdhsa_system_sgpr_workgroup_id_x 1
		.amdhsa_system_sgpr_workgroup_id_y 0
		.amdhsa_system_sgpr_workgroup_id_z 0
		.amdhsa_system_sgpr_workgroup_info 0
		.amdhsa_system_vgpr_workitem_id 0
		.amdhsa_next_free_vgpr 52
		.amdhsa_next_free_sgpr 28
		.amdhsa_accum_offset 52
		.amdhsa_reserve_vcc 1
		.amdhsa_float_round_mode_32 0
		.amdhsa_float_round_mode_16_64 0
		.amdhsa_float_denorm_mode_32 3
		.amdhsa_float_denorm_mode_16_64 3
		.amdhsa_dx10_clamp 1
		.amdhsa_ieee_mode 1
		.amdhsa_fp16_overflow 0
		.amdhsa_tg_split 0
		.amdhsa_exception_fp_ieee_invalid_op 0
		.amdhsa_exception_fp_denorm_src 0
		.amdhsa_exception_fp_ieee_div_zero 0
		.amdhsa_exception_fp_ieee_overflow 0
		.amdhsa_exception_fp_ieee_underflow 0
		.amdhsa_exception_fp_ieee_inexact 0
		.amdhsa_exception_int_div_zero 0
	.end_amdhsa_kernel
	.section	.text._Z30fast_hadamard_transform_kernelI37fast_hadamard_transform_kernel_traitsILi256ELi12EfEEv18HadamardParamsBase,"axG",@progbits,_Z30fast_hadamard_transform_kernelI37fast_hadamard_transform_kernel_traitsILi256ELi12EfEEv18HadamardParamsBase,comdat
.Lfunc_end9:
	.size	_Z30fast_hadamard_transform_kernelI37fast_hadamard_transform_kernel_traitsILi256ELi12EfEEv18HadamardParamsBase, .Lfunc_end9-_Z30fast_hadamard_transform_kernelI37fast_hadamard_transform_kernel_traitsILi256ELi12EfEEv18HadamardParamsBase
                                        ; -- End function
	.set _Z30fast_hadamard_transform_kernelI37fast_hadamard_transform_kernel_traitsILi256ELi12EfEEv18HadamardParamsBase.num_vgpr, 52
	.set _Z30fast_hadamard_transform_kernelI37fast_hadamard_transform_kernel_traitsILi256ELi12EfEEv18HadamardParamsBase.num_agpr, 0
	.set _Z30fast_hadamard_transform_kernelI37fast_hadamard_transform_kernel_traitsILi256ELi12EfEEv18HadamardParamsBase.numbered_sgpr, 28
	.set _Z30fast_hadamard_transform_kernelI37fast_hadamard_transform_kernel_traitsILi256ELi12EfEEv18HadamardParamsBase.num_named_barrier, 0
	.set _Z30fast_hadamard_transform_kernelI37fast_hadamard_transform_kernel_traitsILi256ELi12EfEEv18HadamardParamsBase.private_seg_size, 0
	.set _Z30fast_hadamard_transform_kernelI37fast_hadamard_transform_kernel_traitsILi256ELi12EfEEv18HadamardParamsBase.uses_vcc, 1
	.set _Z30fast_hadamard_transform_kernelI37fast_hadamard_transform_kernel_traitsILi256ELi12EfEEv18HadamardParamsBase.uses_flat_scratch, 0
	.set _Z30fast_hadamard_transform_kernelI37fast_hadamard_transform_kernel_traitsILi256ELi12EfEEv18HadamardParamsBase.has_dyn_sized_stack, 0
	.set _Z30fast_hadamard_transform_kernelI37fast_hadamard_transform_kernel_traitsILi256ELi12EfEEv18HadamardParamsBase.has_recursion, 0
	.set _Z30fast_hadamard_transform_kernelI37fast_hadamard_transform_kernel_traitsILi256ELi12EfEEv18HadamardParamsBase.has_indirect_call, 0
	.section	.AMDGPU.csdata,"",@progbits
; Kernel info:
; codeLenInByte = 4088
; TotalNumSgprs: 34
; NumVgprs: 52
; NumAgprs: 0
; TotalNumVgprs: 52
; ScratchSize: 0
; MemoryBound: 0
; FloatMode: 240
; IeeeMode: 1
; LDSByteSize: 0 bytes/workgroup (compile time only)
; SGPRBlocks: 4
; VGPRBlocks: 6
; NumSGPRsForWavesPerEU: 34
; NumVGPRsForWavesPerEU: 52
; AccumOffset: 52
; Occupancy: 8
; WaveLimiterHint : 0
; COMPUTE_PGM_RSRC2:SCRATCH_EN: 0
; COMPUTE_PGM_RSRC2:USER_SGPR: 2
; COMPUTE_PGM_RSRC2:TRAP_HANDLER: 0
; COMPUTE_PGM_RSRC2:TGID_X_EN: 1
; COMPUTE_PGM_RSRC2:TGID_Y_EN: 0
; COMPUTE_PGM_RSRC2:TGID_Z_EN: 0
; COMPUTE_PGM_RSRC2:TIDIG_COMP_CNT: 0
; COMPUTE_PGM_RSRC3_GFX90A:ACCUM_OFFSET: 12
; COMPUTE_PGM_RSRC3_GFX90A:TG_SPLIT: 0
	.section	.text._Z30fast_hadamard_transform_kernelI37fast_hadamard_transform_kernel_traitsILi256ELi13EfEEv18HadamardParamsBase,"axG",@progbits,_Z30fast_hadamard_transform_kernelI37fast_hadamard_transform_kernel_traitsILi256ELi13EfEEv18HadamardParamsBase,comdat
	.protected	_Z30fast_hadamard_transform_kernelI37fast_hadamard_transform_kernel_traitsILi256ELi13EfEEv18HadamardParamsBase ; -- Begin function _Z30fast_hadamard_transform_kernelI37fast_hadamard_transform_kernel_traitsILi256ELi13EfEEv18HadamardParamsBase
	.globl	_Z30fast_hadamard_transform_kernelI37fast_hadamard_transform_kernel_traitsILi256ELi13EfEEv18HadamardParamsBase
	.p2align	8
	.type	_Z30fast_hadamard_transform_kernelI37fast_hadamard_transform_kernel_traitsILi256ELi13EfEEv18HadamardParamsBase,@function
_Z30fast_hadamard_transform_kernelI37fast_hadamard_transform_kernel_traitsILi256ELi13EfEEv18HadamardParamsBase: ; @_Z30fast_hadamard_transform_kernelI37fast_hadamard_transform_kernel_traitsILi256ELi13EfEEv18HadamardParamsBase
; %bb.0:
	s_load_dwordx4 s[36:39], s[0:1], 0x10
	s_load_dword s16, s[0:1], 0x4
	s_load_dwordx4 s[28:31], s[0:1], 0x28
	s_ashr_i32 s3, s2, 31
	s_load_dword s6, s[0:1], 0x44
	s_waitcnt lgkmcnt(0)
	s_mul_hi_u32 s4, s36, s2
	s_mul_i32 s5, s36, s3
	s_add_i32 s4, s4, s5
	s_mul_i32 s5, s37, s2
	s_add_i32 s5, s4, s5
	s_mul_i32 s4, s36, s2
	s_lshl_b64 s[4:5], s[4:5], 2
	s_add_u32 s14, s28, s4
	v_lshlrev_b32_e32 v1, 2, v0
	s_addc_u32 s15, s29, s5
	v_cmp_gt_u32_e32 vcc, s16, v1
	v_mov_b32_e32 v32, 0
	v_lshlrev_b32_e32 v56, 4, v0
	v_mov_b32_e32 v34, 0
	v_mov_b32_e32 v35, 0
	v_mov_b32_e32 v4, 0
	v_mov_b32_e32 v5, 0
	s_and_saveexec_b64 s[4:5], vcc
	s_cbranch_execz .LBB10_2
; %bb.1:
	global_load_dwordx4 v[2:5], v56, s[14:15]
	s_waitcnt vmcnt(0)
	v_mov_b32_e32 v34, v2
	v_mov_b32_e32 v35, v4
	;; [unrolled: 1-line block ×3, first 2 shown]
.LBB10_2:
	s_or_b64 exec, exec, s[4:5]
	s_and_b32 s17, 0xffff, s6
	v_add_u32_e32 v1, s17, v0
	v_lshlrev_b32_e32 v2, 2, v1
	v_cmp_gt_u32_e64 s[26:27], s16, v2
	v_lshlrev_b32_e32 v62, 4, v1
	v_mov_b32_e32 v33, 0
	v_mov_b32_e32 v8, 0
	v_mov_b32_e32 v9, 0
	s_and_saveexec_b64 s[4:5], s[26:27]
	s_cbranch_execz .LBB10_4
; %bb.3:
	global_load_dwordx4 v[6:9], v62, s[14:15]
	s_waitcnt vmcnt(0)
	v_mov_b32_e32 v32, v6
	v_mov_b32_e32 v33, v8
	v_mov_b32_e32 v8, v7
.LBB10_4:
	s_or_b64 exec, exec, s[4:5]
	v_add_u32_e32 v1, s17, v1
	v_lshlrev_b32_e32 v2, 2, v1
	v_cmp_gt_u32_e64 s[28:29], s16, v2
	v_mov_b32_e32 v2, 0
	v_lshlrev_b32_e32 v63, 4, v1
	v_mov_b32_e32 v6, 0
	v_mov_b32_e32 v7, 0
	v_mov_b32_e32 v12, 0
	v_mov_b32_e32 v13, 0
	s_and_saveexec_b64 s[4:5], s[28:29]
	s_cbranch_execz .LBB10_6
; %bb.5:
	global_load_dwordx4 v[10:13], v63, s[14:15]
	s_waitcnt vmcnt(0)
	v_mov_b32_e32 v6, v10
	v_mov_b32_e32 v7, v12
	v_mov_b32_e32 v12, v11
.LBB10_6:
	s_or_b64 exec, exec, s[4:5]
	v_add_u32_e32 v1, s17, v1
	v_lshlrev_b32_e32 v3, 2, v1
	v_cmp_gt_u32_e64 s[4:5], s16, v3
	v_lshlrev_b32_e32 v64, 4, v1
	v_mov_b32_e32 v3, 0
	v_mov_b32_e32 v16, 0
	v_mov_b32_e32 v17, 0
	s_and_saveexec_b64 s[6:7], s[4:5]
	s_cbranch_execz .LBB10_8
; %bb.7:
	global_load_dwordx4 v[14:17], v64, s[14:15]
	s_waitcnt vmcnt(0)
	v_mov_b32_e32 v2, v14
	v_mov_b32_e32 v3, v16
	v_mov_b32_e32 v16, v15
.LBB10_8:
	s_or_b64 exec, exec, s[6:7]
	v_add_u32_e32 v1, s17, v1
	v_lshlrev_b32_e32 v10, 2, v1
	v_cmp_gt_u32_e64 s[6:7], s16, v10
	v_mov_b32_e32 v10, 0
	v_lshlrev_b32_e32 v65, 4, v1
	v_mov_b32_e32 v14, 0
	v_mov_b32_e32 v15, 0
	v_mov_b32_e32 v20, 0
	v_mov_b32_e32 v21, 0
	s_and_saveexec_b64 s[8:9], s[6:7]
	s_cbranch_execz .LBB10_10
; %bb.9:
	global_load_dwordx4 v[18:21], v65, s[14:15]
	s_waitcnt vmcnt(0)
	v_mov_b32_e32 v14, v18
	v_mov_b32_e32 v15, v20
	v_mov_b32_e32 v20, v19
.LBB10_10:
	s_or_b64 exec, exec, s[8:9]
	v_add_u32_e32 v1, s17, v1
	v_lshlrev_b32_e32 v11, 2, v1
	v_cmp_gt_u32_e64 s[8:9], s16, v11
	v_lshlrev_b32_e32 v66, 4, v1
	v_mov_b32_e32 v11, 0
	v_mov_b32_e32 v24, 0
	v_mov_b32_e32 v25, 0
	s_and_saveexec_b64 s[10:11], s[8:9]
	s_cbranch_execz .LBB10_12
; %bb.11:
	global_load_dwordx4 v[22:25], v66, s[14:15]
	s_waitcnt vmcnt(0)
	v_mov_b32_e32 v10, v22
	v_mov_b32_e32 v11, v24
	v_mov_b32_e32 v24, v23
.LBB10_12:
	s_or_b64 exec, exec, s[10:11]
	v_add_u32_e32 v1, s17, v1
	v_lshlrev_b32_e32 v18, 2, v1
	v_cmp_gt_u32_e64 s[10:11], s16, v18
	v_mov_b32_e32 v26, 0
	v_lshlrev_b32_e32 v67, 4, v1
	v_mov_b32_e32 v18, 0
	v_mov_b32_e32 v19, 0
	v_mov_b32_e32 v30, 0
	v_mov_b32_e32 v31, 0
	s_and_saveexec_b64 s[12:13], s[10:11]
	s_cbranch_execz .LBB10_14
; %bb.13:
	global_load_dwordx4 v[28:31], v67, s[14:15]
	s_waitcnt vmcnt(0)
	v_mov_b32_e32 v18, v28
	v_mov_b32_e32 v19, v30
	v_mov_b32_e32 v30, v29
.LBB10_14:
	s_or_b64 exec, exec, s[12:13]
	s_load_dword s34, s[0:1], 0x20
	v_add_u32_e32 v1, s17, v1
	v_lshlrev_b32_e32 v22, 2, v1
	v_cmp_gt_u32_e64 s[12:13], s16, v22
	v_lshlrev_b32_e32 v68, 4, v1
	v_mov_b32_e32 v36, 0
	v_mov_b32_e32 v27, 0
	;; [unrolled: 1-line block ×3, first 2 shown]
	s_and_saveexec_b64 s[0:1], s[12:13]
	s_cbranch_execz .LBB10_16
; %bb.15:
	global_load_dwordx4 v[26:29], v68, s[14:15]
	s_waitcnt vmcnt(0)
	v_mov_b32_e32 v36, v27
	v_mov_b32_e32 v27, v28
	;; [unrolled: 1-line block ×3, first 2 shown]
.LBB10_16:
	s_or_b64 exec, exec, s[0:1]
	v_pk_add_f32 v[50:51], v[2:3], v[16:17]
	v_pk_add_f32 v[2:3], v[2:3], v[16:17] neg_lo:[0,1] neg_hi:[0,1]
	v_pk_add_f32 v[42:43], v[6:7], v[12:13]
	v_pk_add_f32 v[46:47], v[6:7], v[12:13] neg_lo:[0,1] neg_hi:[0,1]
	;; [unrolled: 2-line block ×4, first 2 shown]
	v_pk_mov_b32 v[30:31], v[50:51], v[2:3] op_sel:[1,0]
	v_sub_f32_e32 v70, v2, v3
	v_mbcnt_lo_u32_b32 v2, -1, 0
	v_mov_b32_e32 v52, v42
	v_pk_mov_b32 v[54:55], v[42:43], v[46:47] op_sel:[1,0]
	v_sub_f32_e32 v60, v42, v43
	v_mbcnt_hi_u32_b32 v42, -1, v2
	v_and_b32_e32 v2, 64, v42
	v_sub_f32_e32 v69, v46, v47
	v_add_u32_e32 v46, 64, v2
	v_xor_b32_e32 v2, 1, v42
	v_pk_add_f32 v[28:29], v[34:35], v[4:5]
	v_pk_add_f32 v[4:5], v[34:35], v[4:5] neg_lo:[0,1] neg_hi:[0,1]
	v_cmp_lt_i32_e64 s[0:1], v2, v46
	v_mov_b32_e32 v34, v28
	v_mov_b32_e32 v35, v5
	v_pk_mov_b32 v[38:39], v[28:29], v[4:5] op_sel:[1,0]
	v_cndmask_b32_e64 v2, v42, v2, s[0:1]
	v_pk_add_f32 v[40:41], v[32:33], v[8:9]
	v_pk_add_f32 v[32:33], v[32:33], v[8:9] neg_lo:[0,1] neg_hi:[0,1]
	v_pk_add_f32 v[22:23], v[10:11], v[24:25]
	v_pk_add_f32 v[24:25], v[10:11], v[24:25] neg_lo:[0,1] neg_hi:[0,1]
	v_mov_b32_e32 v59, v3
	v_pk_add_f32 v[10:11], v[26:27], v[36:37]
	v_pk_add_f32 v[18:19], v[26:27], v[36:37] neg_lo:[0,1] neg_hi:[0,1]
	v_sub_f32_e32 v37, v28, v29
	v_sub_f32_e32 v4, v4, v5
	v_lshlrev_b32_e32 v36, 2, v2
	v_pk_add_f32 v[2:3], v[34:35], v[38:39]
	v_mov_b32_e32 v45, v33
	v_pk_mov_b32 v[48:49], v[40:41], v[32:33] op_sel:[1,0]
	v_mov_b32_e32 v58, v50
	v_sub_f32_e32 v51, v50, v51
	v_sub_f32_e32 v50, v32, v33
	v_and_b32_e32 v5, 1, v0
	ds_bpermute_b32 v26, v36, v2
	ds_bpermute_b32 v27, v36, v3
	;; [unrolled: 1-line block ×4, first 2 shown]
	v_cmp_eq_u32_e64 s[14:15], 0, v5
	v_and_b32_e32 v38, 2, v0
	v_xor_b32_e32 v39, 4, v42
	v_cndmask_b32_e64 v34, -v37, v37, s[14:15]
	v_xor_b32_e32 v37, 2, v42
	v_cmp_lt_i32_e64 s[0:1], v37, v46
	v_cndmask_b32_e64 v29, -v3, v3, s[14:15]
	v_cndmask_b32_e64 v28, -v2, v2, s[14:15]
	;; [unrolled: 1-line block ×3, first 2 shown]
	v_cndmask_b32_e64 v37, v42, v37, s[0:1]
	v_lshlrev_b32_e32 v37, 2, v37
	s_waitcnt lgkmcnt(0)
	v_pk_add_f32 v[26:27], v[28:29], v[26:27]
	v_pk_add_f32 v[28:29], v[34:35], v[32:33]
	ds_bpermute_b32 v32, v37, v26
	ds_bpermute_b32 v33, v37, v27
	;; [unrolled: 1-line block ×4, first 2 shown]
	v_cmp_lt_i32_e64 s[0:1], v39, v46
	v_cmp_eq_u32_e64 s[16:17], 0, v38
	v_sub_f32_e32 v57, v40, v41
	v_cndmask_b32_e64 v39, v42, v39, s[0:1]
	v_cndmask_b32_e64 v27, -v27, v27, s[16:17]
	v_cndmask_b32_e64 v26, -v26, v26, s[16:17]
	;; [unrolled: 1-line block ×4, first 2 shown]
	v_lshlrev_b32_e32 v39, 2, v39
	s_waitcnt lgkmcnt(2)
	v_pk_add_f32 v[26:27], v[26:27], v[32:33]
	s_waitcnt lgkmcnt(0)
	v_pk_add_f32 v[28:29], v[28:29], v[34:35]
	ds_bpermute_b32 v32, v39, v26
	ds_bpermute_b32 v33, v39, v27
	;; [unrolled: 1-line block ×4, first 2 shown]
	v_and_b32_e32 v41, 4, v0
	v_xor_b32_e32 v38, 8, v42
	v_cmp_lt_i32_e64 s[0:1], v38, v46
	v_cmp_eq_u32_e64 s[18:19], 0, v41
	v_mov_b32_e32 v44, v40
	v_cndmask_b32_e64 v38, v42, v38, s[0:1]
	v_cndmask_b32_e64 v27, -v27, v27, s[18:19]
	v_cndmask_b32_e64 v26, -v26, v26, s[18:19]
	;; [unrolled: 1-line block ×4, first 2 shown]
	v_lshlrev_b32_e32 v40, 2, v38
	s_waitcnt lgkmcnt(2)
	v_pk_add_f32 v[26:27], v[26:27], v[32:33]
	s_waitcnt lgkmcnt(0)
	v_pk_add_f32 v[28:29], v[28:29], v[34:35]
	ds_bpermute_b32 v32, v40, v26
	ds_bpermute_b32 v33, v40, v27
	;; [unrolled: 1-line block ×4, first 2 shown]
	v_pk_add_f32 v[2:3], v[44:45], v[48:49]
	v_and_b32_e32 v44, 8, v0
	v_xor_b32_e32 v41, 16, v42
	v_cmp_eq_u32_e64 s[20:21], 0, v44
	v_cmp_lt_i32_e64 s[0:1], v41, v46
	v_mov_b32_e32 v53, v47
	v_cndmask_b32_e64 v27, -v27, v27, s[20:21]
	v_cndmask_b32_e64 v26, -v26, v26, s[20:21]
	;; [unrolled: 1-line block ×4, first 2 shown]
	v_cndmask_b32_e64 v41, v42, v41, s[0:1]
	v_lshlrev_b32_e32 v41, 2, v41
	s_waitcnt lgkmcnt(2)
	v_pk_add_f32 v[26:27], v[26:27], v[32:33]
	s_waitcnt lgkmcnt(0)
	v_pk_add_f32 v[28:29], v[28:29], v[34:35]
	ds_bpermute_b32 v32, v41, v26
	ds_bpermute_b32 v33, v41, v27
	;; [unrolled: 1-line block ×4, first 2 shown]
	v_mov_b32_e32 v7, v21
	v_pk_mov_b32 v[8:9], v[16:17], v[20:21] op_sel:[1,0]
	v_pk_add_f32 v[4:5], v[52:53], v[54:55]
	v_and_b32_e32 v38, 16, v0
	v_mov_b32_e32 v44, v22
	v_sub_f32_e32 v54, v20, v21
	v_sub_f32_e32 v55, v22, v23
	v_pk_mov_b32 v[20:21], v[22:23], v[24:25] op_sel:[1,0]
	v_xor_b32_e32 v22, 32, v42
	v_cmp_eq_u32_e64 s[22:23], 0, v38
	v_cmp_lt_i32_e64 s[0:1], v22, v46
	v_pk_add_f32 v[30:31], v[58:59], v[30:31]
	v_cndmask_b32_e64 v27, -v27, v27, s[22:23]
	v_cndmask_b32_e64 v26, -v26, v26, s[22:23]
	;; [unrolled: 1-line block ×4, first 2 shown]
	v_cndmask_b32_e64 v22, v42, v22, s[0:1]
	v_mov_b32_e32 v45, v25
	v_sub_f32_e32 v58, v24, v25
	v_lshlrev_b32_e32 v42, 2, v22
	s_waitcnt lgkmcnt(2)
	v_pk_add_f32 v[22:23], v[26:27], v[32:33]
	s_waitcnt lgkmcnt(0)
	v_pk_add_f32 v[24:25], v[28:29], v[34:35]
	ds_bpermute_b32 v26, v42, v22
	ds_bpermute_b32 v27, v42, v23
	;; [unrolled: 1-line block ×4, first 2 shown]
	v_add_f32_e32 v1, v10, v11
	v_sub_f32_e32 v43, v10, v11
	ds_bpermute_b32 v10, v36, v2
	ds_bpermute_b32 v11, v36, v3
	v_add_f32_e32 v72, v18, v19
	v_sub_f32_e32 v73, v18, v19
	ds_bpermute_b32 v18, v36, v57
	ds_bpermute_b32 v19, v36, v50
	v_mov_b32_e32 v6, v16
	v_and_b32_e32 v38, 32, v0
	v_cmp_eq_u32_e64 s[24:25], 0, v38
	v_pk_add_f32 v[6:7], v[6:7], v[8:9]
	v_lshrrev_b32_e32 v8, 6, v0
	v_cndmask_b32_e64 v23, -v23, v23, s[24:25]
	v_cndmask_b32_e64 v22, -v22, v22, s[24:25]
	v_cndmask_b32_e64 v25, -v25, v25, s[24:25]
	v_cndmask_b32_e64 v24, -v24, v24, s[24:25]
	v_xor_b32_e32 v8, v8, v0
	v_sub_f32_e32 v61, v16, v17
	v_cndmask_b32_e64 v17, -v3, v3, s[14:15]
	v_cndmask_b32_e64 v16, -v2, v2, s[14:15]
	v_mov_b32_e32 v46, v12
	v_mov_b32_e32 v47, v15
	v_sub_f32_e32 v59, v12, v13
	v_pk_mov_b32 v[48:49], v[12:13], v[14:15] op_sel:[1,0]
	v_sub_f32_e32 v71, v14, v15
	s_waitcnt lgkmcnt(6)
	v_pk_add_f32 v[12:13], v[22:23], v[26:27]
	s_waitcnt lgkmcnt(4)
	v_pk_add_f32 v[14:15], v[24:25], v[28:29]
	v_cndmask_b32_e64 v22, -v57, v57, s[14:15]
	v_cndmask_b32_e64 v23, -v50, v50, s[14:15]
	v_lshl_add_u32 v38, v8, 4, 0
	s_waitcnt lgkmcnt(0)
	s_barrier
	ds_write_b128 v38, v[12:15]
	ds_bpermute_b32 v12, v36, v6
	ds_bpermute_b32 v13, v36, v7
	v_cndmask_b32_e64 v15, -v7, v7, s[14:15]
	v_cndmask_b32_e64 v14, -v6, v6, s[14:15]
	v_pk_add_f32 v[6:7], v[16:17], v[10:11]
	v_pk_add_f32 v[8:9], v[22:23], v[18:19]
	ds_bpermute_b32 v10, v37, v6
	ds_bpermute_b32 v11, v37, v7
	ds_bpermute_b32 v16, v37, v8
	ds_bpermute_b32 v17, v37, v9
	v_cndmask_b32_e64 v7, -v7, v7, s[16:17]
	v_cndmask_b32_e64 v6, -v6, v6, s[16:17]
	v_cndmask_b32_e64 v9, -v9, v9, s[16:17]
	v_cndmask_b32_e64 v8, -v8, v8, s[16:17]
	s_waitcnt lgkmcnt(2)
	v_pk_add_f32 v[6:7], v[6:7], v[10:11]
	s_waitcnt lgkmcnt(0)
	v_pk_add_f32 v[8:9], v[8:9], v[16:17]
	ds_bpermute_b32 v10, v39, v6
	ds_bpermute_b32 v11, v39, v7
	ds_bpermute_b32 v16, v39, v8
	ds_bpermute_b32 v17, v39, v9
	v_cndmask_b32_e64 v7, -v7, v7, s[18:19]
	v_cndmask_b32_e64 v6, -v6, v6, s[18:19]
	v_cndmask_b32_e64 v9, -v9, v9, s[18:19]
	v_cndmask_b32_e64 v8, -v8, v8, s[18:19]
	s_waitcnt lgkmcnt(2)
	v_pk_add_f32 v[6:7], v[6:7], v[10:11]
	s_waitcnt lgkmcnt(0)
	;; [unrolled: 12-line block ×4, first 2 shown]
	v_pk_add_f32 v[8:9], v[8:9], v[16:17]
	ds_bpermute_b32 v2, v36, v4
	ds_bpermute_b32 v3, v36, v5
	;; [unrolled: 1-line block ×8, first 2 shown]
	v_cndmask_b32_e64 v5, -v5, v5, s[14:15]
	v_cndmask_b32_e64 v4, -v4, v4, s[14:15]
	;; [unrolled: 1-line block ×8, first 2 shown]
	s_waitcnt lgkmcnt(2)
	v_pk_add_f32 v[6:7], v[6:7], v[10:11]
	s_waitcnt lgkmcnt(0)
	v_pk_add_f32 v[8:9], v[8:9], v[16:17]
	v_pk_add_f32 v[10:11], v[46:47], v[48:49]
	;; [unrolled: 1-line block ×4, first 2 shown]
	ds_write_b128 v38, v[6:9] offset:4096
	ds_bpermute_b32 v6, v36, v10
	ds_bpermute_b32 v7, v36, v11
	v_cndmask_b32_e64 v9, -v11, v11, s[14:15]
	v_cndmask_b32_e64 v8, -v10, v10, s[14:15]
	ds_bpermute_b32 v10, v37, v2
	ds_bpermute_b32 v11, v37, v3
	ds_bpermute_b32 v24, v37, v4
	ds_bpermute_b32 v25, v37, v5
	v_cndmask_b32_e64 v3, -v3, v3, s[16:17]
	v_cndmask_b32_e64 v2, -v2, v2, s[16:17]
	v_cndmask_b32_e64 v5, -v5, v5, s[16:17]
	v_cndmask_b32_e64 v4, -v4, v4, s[16:17]
	s_waitcnt lgkmcnt(2)
	v_pk_add_f32 v[2:3], v[2:3], v[10:11]
	s_waitcnt lgkmcnt(0)
	v_pk_add_f32 v[4:5], v[4:5], v[24:25]
	ds_bpermute_b32 v10, v39, v2
	ds_bpermute_b32 v11, v39, v3
	ds_bpermute_b32 v24, v39, v4
	ds_bpermute_b32 v25, v39, v5
	v_cndmask_b32_e64 v3, -v3, v3, s[18:19]
	v_cndmask_b32_e64 v2, -v2, v2, s[18:19]
	v_cndmask_b32_e64 v5, -v5, v5, s[18:19]
	v_cndmask_b32_e64 v4, -v4, v4, s[18:19]
	s_waitcnt lgkmcnt(2)
	v_pk_add_f32 v[2:3], v[2:3], v[10:11]
	s_waitcnt lgkmcnt(0)
	v_pk_add_f32 v[4:5], v[4:5], v[24:25]
	;; [unrolled: 12-line block ×4, first 2 shown]
	ds_bpermute_b32 v28, v36, v30
	ds_bpermute_b32 v29, v36, v31
	v_pk_add_f32 v[20:21], v[44:45], v[20:21]
	ds_bpermute_b32 v50, v36, v51
	v_cndmask_b32_e64 v52, -v51, v51, s[14:15]
	ds_bpermute_b32 v51, v36, v70
	ds_bpermute_b32 v10, v42, v2
	;; [unrolled: 1-line block ×5, first 2 shown]
	v_cndmask_b32_e64 v31, -v31, v31, s[14:15]
	v_cndmask_b32_e64 v30, -v30, v30, s[14:15]
	;; [unrolled: 1-line block ×7, first 2 shown]
	s_waitcnt lgkmcnt(2)
	v_pk_add_f32 v[46:47], v[2:3], v[10:11]
	s_waitcnt lgkmcnt(0)
	v_pk_add_f32 v[48:49], v[4:5], v[44:45]
	v_pk_add_f32 v[28:29], v[30:31], v[28:29]
	;; [unrolled: 1-line block ×3, first 2 shown]
	ds_write_b128 v38, v[46:49] offset:8192
	ds_bpermute_b32 v46, v37, v28
	ds_bpermute_b32 v47, v37, v29
	ds_bpermute_b32 v48, v37, v30
	ds_bpermute_b32 v49, v37, v31
	v_cndmask_b32_e64 v29, -v29, v29, s[16:17]
	v_cndmask_b32_e64 v28, -v28, v28, s[16:17]
	v_cndmask_b32_e64 v31, -v31, v31, s[16:17]
	v_cndmask_b32_e64 v30, -v30, v30, s[16:17]
	s_waitcnt lgkmcnt(2)
	v_pk_add_f32 v[28:29], v[28:29], v[46:47]
	s_waitcnt lgkmcnt(0)
	v_pk_add_f32 v[30:31], v[30:31], v[48:49]
	ds_bpermute_b32 v46, v39, v28
	ds_bpermute_b32 v47, v39, v29
	ds_bpermute_b32 v48, v39, v30
	ds_bpermute_b32 v49, v39, v31
	v_cndmask_b32_e64 v29, -v29, v29, s[18:19]
	v_cndmask_b32_e64 v28, -v28, v28, s[18:19]
	v_cndmask_b32_e64 v31, -v31, v31, s[18:19]
	v_cndmask_b32_e64 v30, -v30, v30, s[18:19]
	s_waitcnt lgkmcnt(2)
	v_pk_add_f32 v[28:29], v[28:29], v[46:47]
	s_waitcnt lgkmcnt(0)
	v_pk_add_f32 v[30:31], v[30:31], v[48:49]
	;; [unrolled: 12-line block ×4, first 2 shown]
	ds_bpermute_b32 v32, v36, v61
	ds_bpermute_b32 v33, v36, v54
	;; [unrolled: 1-line block ×6, first 2 shown]
	v_cndmask_b32_e64 v34, -v61, v61, s[14:15]
	v_cndmask_b32_e64 v35, -v54, v54, s[14:15]
	v_cndmask_b32_e64 v29, -v29, v29, s[24:25]
	v_cndmask_b32_e64 v28, -v28, v28, s[24:25]
	v_cndmask_b32_e64 v31, -v31, v31, s[24:25]
	v_cndmask_b32_e64 v30, -v30, v30, s[24:25]
	s_waitcnt lgkmcnt(2)
	v_pk_add_f32 v[28:29], v[28:29], v[46:47]
	s_waitcnt lgkmcnt(0)
	v_pk_add_f32 v[30:31], v[30:31], v[48:49]
	v_pk_add_f32 v[12:13], v[14:15], v[12:13]
	;; [unrolled: 1-line block ×3, first 2 shown]
	ds_write_b128 v38, v[28:31] offset:12288
	ds_bpermute_b32 v28, v37, v12
	ds_bpermute_b32 v29, v37, v13
	ds_bpermute_b32 v30, v37, v14
	ds_bpermute_b32 v31, v37, v15
	v_cndmask_b32_e64 v13, -v13, v13, s[16:17]
	v_cndmask_b32_e64 v12, -v12, v12, s[16:17]
	v_cndmask_b32_e64 v15, -v15, v15, s[16:17]
	v_cndmask_b32_e64 v14, -v14, v14, s[16:17]
	s_waitcnt lgkmcnt(2)
	v_pk_add_f32 v[12:13], v[12:13], v[28:29]
	s_waitcnt lgkmcnt(0)
	v_pk_add_f32 v[14:15], v[14:15], v[30:31]
	ds_bpermute_b32 v28, v39, v12
	ds_bpermute_b32 v29, v39, v13
	ds_bpermute_b32 v30, v39, v14
	ds_bpermute_b32 v31, v39, v15
	v_cndmask_b32_e64 v13, -v13, v13, s[18:19]
	v_cndmask_b32_e64 v12, -v12, v12, s[18:19]
	v_cndmask_b32_e64 v15, -v15, v15, s[18:19]
	v_cndmask_b32_e64 v14, -v14, v14, s[18:19]
	s_waitcnt lgkmcnt(2)
	v_pk_add_f32 v[12:13], v[12:13], v[28:29]
	s_waitcnt lgkmcnt(0)
	v_pk_add_f32 v[14:15], v[14:15], v[30:31]
	;; [unrolled: 12-line block ×4, first 2 shown]
	ds_bpermute_b32 v28, v42, v12
	ds_bpermute_b32 v29, v42, v13
	;; [unrolled: 1-line block ×6, first 2 shown]
	v_cndmask_b32_e64 v19, -v21, v21, s[14:15]
	v_cndmask_b32_e64 v18, -v20, v20, s[14:15]
	ds_bpermute_b32 v20, v36, v55
	ds_bpermute_b32 v21, v36, v58
	v_cndmask_b32_e64 v13, -v13, v13, s[24:25]
	v_cndmask_b32_e64 v12, -v12, v12, s[24:25]
	;; [unrolled: 1-line block ×6, first 2 shown]
	s_waitcnt lgkmcnt(6)
	v_pk_add_f32 v[12:13], v[12:13], v[28:29]
	s_waitcnt lgkmcnt(4)
	v_pk_add_f32 v[14:15], v[14:15], v[30:31]
	ds_write_b128 v38, v[12:15] offset:16384
	s_waitcnt lgkmcnt(3)
	v_pk_add_f32 v[12:13], v[18:19], v[16:17]
	s_waitcnt lgkmcnt(1)
	v_pk_add_f32 v[14:15], v[22:23], v[20:21]
	ds_bpermute_b32 v16, v37, v12
	ds_bpermute_b32 v17, v37, v13
	ds_bpermute_b32 v18, v37, v14
	ds_bpermute_b32 v19, v37, v15
	v_cndmask_b32_e64 v13, -v13, v13, s[16:17]
	v_cndmask_b32_e64 v12, -v12, v12, s[16:17]
	v_cndmask_b32_e64 v15, -v15, v15, s[16:17]
	v_cndmask_b32_e64 v14, -v14, v14, s[16:17]
	s_waitcnt lgkmcnt(2)
	v_pk_add_f32 v[12:13], v[12:13], v[16:17]
	s_waitcnt lgkmcnt(0)
	v_pk_add_f32 v[14:15], v[14:15], v[18:19]
	ds_bpermute_b32 v16, v39, v12
	ds_bpermute_b32 v17, v39, v13
	ds_bpermute_b32 v18, v39, v14
	ds_bpermute_b32 v19, v39, v15
	v_cndmask_b32_e64 v13, -v13, v13, s[18:19]
	v_cndmask_b32_e64 v12, -v12, v12, s[18:19]
	v_cndmask_b32_e64 v15, -v15, v15, s[18:19]
	v_cndmask_b32_e64 v14, -v14, v14, s[18:19]
	;; [unrolled: 12-line block ×4, first 2 shown]
	s_waitcnt lgkmcnt(2)
	v_pk_add_f32 v[12:13], v[12:13], v[16:17]
	s_waitcnt lgkmcnt(0)
	v_pk_add_f32 v[14:15], v[14:15], v[18:19]
	ds_bpermute_b32 v24, v36, v59
	ds_bpermute_b32 v25, v36, v71
	;; [unrolled: 1-line block ×6, first 2 shown]
	v_cndmask_b32_e64 v26, -v59, v59, s[14:15]
	v_cndmask_b32_e64 v27, -v71, v71, s[14:15]
	;; [unrolled: 1-line block ×6, first 2 shown]
	s_waitcnt lgkmcnt(2)
	v_pk_add_f32 v[12:13], v[12:13], v[16:17]
	s_waitcnt lgkmcnt(0)
	v_pk_add_f32 v[14:15], v[14:15], v[18:19]
	v_pk_add_f32 v[6:7], v[8:9], v[6:7]
	;; [unrolled: 1-line block ×3, first 2 shown]
	ds_write_b128 v38, v[12:15] offset:20480
	ds_bpermute_b32 v12, v37, v6
	ds_bpermute_b32 v13, v37, v7
	ds_bpermute_b32 v14, v37, v8
	ds_bpermute_b32 v15, v37, v9
	v_cndmask_b32_e64 v7, -v7, v7, s[16:17]
	v_cndmask_b32_e64 v6, -v6, v6, s[16:17]
	v_cndmask_b32_e64 v9, -v9, v9, s[16:17]
	v_cndmask_b32_e64 v8, -v8, v8, s[16:17]
	s_waitcnt lgkmcnt(2)
	v_pk_add_f32 v[6:7], v[6:7], v[12:13]
	s_waitcnt lgkmcnt(0)
	v_pk_add_f32 v[8:9], v[8:9], v[14:15]
	ds_bpermute_b32 v12, v39, v6
	ds_bpermute_b32 v13, v39, v7
	ds_bpermute_b32 v14, v39, v8
	ds_bpermute_b32 v15, v39, v9
	v_cndmask_b32_e64 v7, -v7, v7, s[18:19]
	v_cndmask_b32_e64 v6, -v6, v6, s[18:19]
	v_cndmask_b32_e64 v9, -v9, v9, s[18:19]
	v_cndmask_b32_e64 v8, -v8, v8, s[18:19]
	s_waitcnt lgkmcnt(2)
	v_pk_add_f32 v[6:7], v[6:7], v[12:13]
	s_waitcnt lgkmcnt(0)
	v_pk_add_f32 v[8:9], v[8:9], v[14:15]
	;; [unrolled: 12-line block ×3, first 2 shown]
	ds_bpermute_b32 v12, v41, v6
	ds_bpermute_b32 v13, v41, v7
	ds_bpermute_b32 v14, v41, v8
	ds_bpermute_b32 v15, v41, v9
	ds_bpermute_b32 v2, v36, v1
	v_cndmask_b32_e64 v4, -v1, v1, s[14:15]
	v_and_b32_e32 v1, 3, v0
	v_cndmask_b32_e64 v7, -v7, v7, s[22:23]
	v_cndmask_b32_e64 v6, -v6, v6, s[22:23]
	;; [unrolled: 1-line block ×4, first 2 shown]
	v_lshrrev_b32_e32 v0, 2, v0
	v_lshlrev_b32_e32 v10, 6, v1
	s_waitcnt lgkmcnt(3)
	v_pk_add_f32 v[6:7], v[6:7], v[12:13]
	s_waitcnt lgkmcnt(1)
	v_pk_add_f32 v[8:9], v[8:9], v[14:15]
	ds_bpermute_b32 v3, v36, v72
	v_bitop3_b32 v44, v10, v1, v0 bitop3:0x36
	ds_bpermute_b32 v0, v36, v43
	ds_bpermute_b32 v1, v36, v73
	;; [unrolled: 1-line block ×6, first 2 shown]
	v_cndmask_b32_e64 v5, -v72, v72, s[14:15]
	v_cndmask_b32_e64 v10, -v43, v43, s[14:15]
	;; [unrolled: 1-line block ×7, first 2 shown]
	s_waitcnt lgkmcnt(2)
	v_pk_add_f32 v[6:7], v[6:7], v[12:13]
	s_waitcnt lgkmcnt(0)
	v_pk_add_f32 v[8:9], v[8:9], v[14:15]
	v_pk_add_f32 v[0:1], v[10:11], v[0:1]
	;; [unrolled: 1-line block ×3, first 2 shown]
	ds_write_b128 v38, v[6:9] offset:24576
	ds_bpermute_b32 v4, v37, v2
	ds_bpermute_b32 v5, v37, v3
	ds_bpermute_b32 v6, v37, v0
	ds_bpermute_b32 v7, v37, v1
	v_cndmask_b32_e64 v3, -v3, v3, s[16:17]
	v_cndmask_b32_e64 v2, -v2, v2, s[16:17]
	v_cndmask_b32_e64 v1, -v1, v1, s[16:17]
	v_cndmask_b32_e64 v0, -v0, v0, s[16:17]
	s_waitcnt lgkmcnt(0)
	v_pk_add_f32 v[0:1], v[0:1], v[6:7]
	v_pk_add_f32 v[2:3], v[2:3], v[4:5]
	ds_bpermute_b32 v4, v39, v2
	ds_bpermute_b32 v5, v39, v3
	ds_bpermute_b32 v6, v39, v0
	ds_bpermute_b32 v7, v39, v1
	v_cndmask_b32_e64 v3, -v3, v3, s[18:19]
	v_cndmask_b32_e64 v2, -v2, v2, s[18:19]
	v_cndmask_b32_e64 v1, -v1, v1, s[18:19]
	v_cndmask_b32_e64 v0, -v0, v0, s[18:19]
	s_waitcnt lgkmcnt(0)
	v_pk_add_f32 v[0:1], v[0:1], v[6:7]
	v_pk_add_f32 v[2:3], v[2:3], v[4:5]
	;; [unrolled: 11-line block ×5, first 2 shown]
	v_lshl_add_u32 v39, v44, 4, 0
	ds_write_b128 v38, v[0:3] offset:28672
	s_waitcnt lgkmcnt(0)
	s_barrier
	ds_read_b128 v[0:3], v39
	ds_read_b128 v[4:7], v39 offset:4096
	s_mul_i32 s0, s38, s3
	s_mul_hi_u32 s1, s38, s2
	s_add_i32 s0, s1, s0
	s_waitcnt lgkmcnt(1)
	ds_bpermute_b32 v8, v36, v0
	ds_bpermute_b32 v9, v36, v1
	ds_bpermute_b32 v10, v36, v2
	ds_bpermute_b32 v11, v36, v3
	v_cndmask_b32_e64 v1, -v1, v1, s[14:15]
	v_cndmask_b32_e64 v0, -v0, v0, s[14:15]
	v_cndmask_b32_e64 v3, -v3, v3, s[14:15]
	v_cndmask_b32_e64 v2, -v2, v2, s[14:15]
	s_waitcnt lgkmcnt(0)
	v_pk_add_f32 v[2:3], v[2:3], v[10:11]
	v_pk_add_f32 v[0:1], v[0:1], v[8:9]
	ds_bpermute_b32 v8, v37, v0
	ds_bpermute_b32 v9, v37, v1
	ds_bpermute_b32 v10, v37, v2
	ds_bpermute_b32 v11, v37, v3
	v_cndmask_b32_e64 v1, -v1, v1, s[16:17]
	v_cndmask_b32_e64 v0, -v0, v0, s[16:17]
	v_cndmask_b32_e64 v3, -v3, v3, s[16:17]
	v_cndmask_b32_e64 v2, -v2, v2, s[16:17]
	s_waitcnt lgkmcnt(0)
	v_pk_add_f32 v[2:3], v[2:3], v[10:11]
	v_pk_add_f32 v[0:1], v[0:1], v[8:9]
	;; [unrolled: 11-line block ×3, first 2 shown]
	ds_bpermute_b32 v12, v37, v4
	ds_bpermute_b32 v13, v37, v5
	;; [unrolled: 1-line block ×4, first 2 shown]
	ds_read_b128 v[8:11], v39 offset:8192
	v_cndmask_b32_e64 v5, -v5, v5, s[16:17]
	v_cndmask_b32_e64 v4, -v4, v4, s[16:17]
	;; [unrolled: 1-line block ×4, first 2 shown]
	s_waitcnt lgkmcnt(1)
	v_pk_add_f32 v[6:7], v[6:7], v[14:15]
	v_pk_add_f32 v[4:5], v[4:5], v[12:13]
	ds_read_b128 v[12:15], v39 offset:12288
	s_waitcnt lgkmcnt(1)
	ds_bpermute_b32 v16, v36, v8
	ds_bpermute_b32 v17, v36, v9
	ds_bpermute_b32 v18, v36, v10
	ds_bpermute_b32 v19, v36, v11
	v_cndmask_b32_e64 v9, -v9, v9, s[14:15]
	v_cndmask_b32_e64 v8, -v8, v8, s[14:15]
	v_cndmask_b32_e64 v11, -v11, v11, s[14:15]
	v_cndmask_b32_e64 v10, -v10, v10, s[14:15]
	s_waitcnt lgkmcnt(0)
	v_pk_add_f32 v[10:11], v[10:11], v[18:19]
	v_pk_add_f32 v[8:9], v[8:9], v[16:17]
	ds_bpermute_b32 v16, v37, v8
	ds_bpermute_b32 v17, v37, v9
	ds_bpermute_b32 v18, v37, v10
	ds_bpermute_b32 v19, v37, v11
	v_cndmask_b32_e64 v9, -v9, v9, s[16:17]
	v_cndmask_b32_e64 v8, -v8, v8, s[16:17]
	v_cndmask_b32_e64 v11, -v11, v11, s[16:17]
	v_cndmask_b32_e64 v10, -v10, v10, s[16:17]
	s_waitcnt lgkmcnt(0)
	v_pk_add_f32 v[10:11], v[10:11], v[18:19]
	v_pk_add_f32 v[8:9], v[8:9], v[16:17]
	;; [unrolled: 11-line block ×3, first 2 shown]
	ds_bpermute_b32 v16, v37, v12
	ds_bpermute_b32 v17, v37, v13
	;; [unrolled: 1-line block ×4, first 2 shown]
	v_cndmask_b32_e64 v23, -v13, v13, s[16:17]
	v_cndmask_b32_e64 v22, -v12, v12, s[16:17]
	ds_read_b128 v[12:15], v39 offset:16384
	v_cndmask_b32_e64 v19, -v19, v19, s[16:17]
	v_cndmask_b32_e64 v18, -v18, v18, s[16:17]
	s_waitcnt lgkmcnt(1)
	v_pk_add_f32 v[18:19], v[18:19], v[20:21]
	v_pk_add_f32 v[16:17], v[22:23], v[16:17]
	ds_read_b128 v[20:23], v39 offset:20480
	s_waitcnt lgkmcnt(1)
	ds_bpermute_b32 v24, v36, v12
	ds_bpermute_b32 v25, v36, v13
	ds_bpermute_b32 v26, v36, v14
	ds_bpermute_b32 v27, v36, v15
	v_cndmask_b32_e64 v13, -v13, v13, s[14:15]
	v_cndmask_b32_e64 v12, -v12, v12, s[14:15]
	v_cndmask_b32_e64 v15, -v15, v15, s[14:15]
	v_cndmask_b32_e64 v14, -v14, v14, s[14:15]
	s_waitcnt lgkmcnt(0)
	v_pk_add_f32 v[14:15], v[14:15], v[26:27]
	v_pk_add_f32 v[12:13], v[12:13], v[24:25]
	ds_bpermute_b32 v24, v37, v12
	ds_bpermute_b32 v25, v37, v13
	ds_bpermute_b32 v26, v37, v14
	ds_bpermute_b32 v27, v37, v15
	v_cndmask_b32_e64 v13, -v13, v13, s[16:17]
	v_cndmask_b32_e64 v12, -v12, v12, s[16:17]
	v_cndmask_b32_e64 v15, -v15, v15, s[16:17]
	v_cndmask_b32_e64 v14, -v14, v14, s[16:17]
	s_waitcnt lgkmcnt(0)
	v_pk_add_f32 v[14:15], v[14:15], v[26:27]
	v_pk_add_f32 v[12:13], v[12:13], v[24:25]
	;; [unrolled: 11-line block ×3, first 2 shown]
	ds_bpermute_b32 v24, v37, v20
	ds_bpermute_b32 v25, v37, v21
	ds_bpermute_b32 v28, v37, v26
	ds_bpermute_b32 v29, v37, v27
	v_cndmask_b32_e64 v31, -v21, v21, s[16:17]
	v_cndmask_b32_e64 v30, -v20, v20, s[16:17]
	ds_read_b128 v[20:23], v39 offset:24576
	v_cndmask_b32_e64 v27, -v27, v27, s[16:17]
	v_cndmask_b32_e64 v26, -v26, v26, s[16:17]
	s_waitcnt lgkmcnt(1)
	v_pk_add_f32 v[26:27], v[26:27], v[28:29]
	v_pk_add_f32 v[24:25], v[30:31], v[24:25]
	ds_read_b128 v[28:31], v39 offset:28672
	s_waitcnt lgkmcnt(1)
	ds_bpermute_b32 v32, v36, v20
	ds_bpermute_b32 v33, v36, v21
	ds_bpermute_b32 v34, v36, v22
	ds_bpermute_b32 v35, v36, v23
	v_cndmask_b32_e64 v21, -v21, v21, s[14:15]
	v_cndmask_b32_e64 v20, -v20, v20, s[14:15]
	v_cndmask_b32_e64 v23, -v23, v23, s[14:15]
	v_cndmask_b32_e64 v22, -v22, v22, s[14:15]
	s_waitcnt lgkmcnt(0)
	v_pk_add_f32 v[22:23], v[22:23], v[34:35]
	v_pk_add_f32 v[20:21], v[20:21], v[32:33]
	ds_bpermute_b32 v32, v37, v20
	ds_bpermute_b32 v33, v37, v21
	ds_bpermute_b32 v34, v37, v22
	ds_bpermute_b32 v35, v37, v23
	v_cndmask_b32_e64 v21, -v21, v21, s[16:17]
	v_cndmask_b32_e64 v20, -v20, v20, s[16:17]
	v_cndmask_b32_e64 v23, -v23, v23, s[16:17]
	v_cndmask_b32_e64 v22, -v22, v22, s[16:17]
	s_waitcnt lgkmcnt(0)
	v_pk_add_f32 v[22:23], v[22:23], v[34:35]
	v_pk_add_f32 v[20:21], v[20:21], v[32:33]
	;; [unrolled: 11-line block ×4, first 2 shown]
	s_barrier
	ds_write_b128 v39, v[0:3]
	ds_write_b128 v39, v[4:7] offset:4096
	ds_write_b128 v39, v[8:11] offset:8192
	;; [unrolled: 1-line block ×7, first 2 shown]
	s_waitcnt lgkmcnt(0)
	s_barrier
	ds_read_b128 v[0:3], v38
	ds_read_b128 v[4:7], v38 offset:4096
	ds_read_b128 v[8:11], v38 offset:8192
	;; [unrolled: 1-line block ×7, first 2 shown]
	s_mul_i32 s1, s39, s2
	s_add_i32 s1, s0, s1
	s_mul_i32 s0, s38, s2
	s_lshl_b64 s[0:1], s[0:1], 2
	s_waitcnt lgkmcnt(6)
	v_pk_add_f32 v[40:41], v[0:1], v[4:5]
	s_waitcnt lgkmcnt(4)
	v_pk_add_f32 v[42:43], v[8:9], v[12:13]
	s_waitcnt lgkmcnt(2)
	v_pk_add_f32 v[44:45], v[16:17], v[20:21]
	s_waitcnt lgkmcnt(0)
	v_pk_add_f32 v[46:47], v[24:25], v[28:29]
	v_pk_add_f32 v[48:49], v[2:3], v[6:7]
	v_pk_add_f32 v[50:51], v[10:11], v[14:15]
	;; [unrolled: 1-line block ×4, first 2 shown]
	s_add_u32 s0, s30, s0
	v_pk_add_f32 v[32:33], v[40:41], v[42:43]
	v_pk_add_f32 v[34:35], v[44:45], v[46:47]
	s_addc_u32 s1, s31, s1
	s_mov_b32 s35, s34
	v_pk_add_f32 v[36:37], v[48:49], v[50:51]
	v_pk_add_f32 v[38:39], v[52:53], v[54:55]
	s_and_saveexec_b64 s[2:3], vcc
	s_cbranch_execz .LBB10_18
; %bb.17:
	v_pk_add_f32 v[58:59], v[32:33], v[34:35]
	v_pk_add_f32 v[60:61], v[36:37], v[38:39]
	v_pk_mul_f32 v[58:59], s[34:35], v[58:59]
	v_pk_mul_f32 v[60:61], s[34:35], v[60:61]
	global_store_dwordx4 v56, v[58:61], s[0:1]
.LBB10_18:
	s_or_b64 exec, exec, s[2:3]
	v_pk_add_f32 v[56:57], v[0:1], v[4:5] neg_lo:[0,1] neg_hi:[0,1]
	v_pk_add_f32 v[58:59], v[8:9], v[12:13] neg_lo:[0,1] neg_hi:[0,1]
	;; [unrolled: 1-line block ×8, first 2 shown]
	v_pk_add_f32 v[0:1], v[56:57], v[58:59]
	v_pk_add_f32 v[4:5], v[20:21], v[24:25]
	;; [unrolled: 1-line block ×4, first 2 shown]
	s_and_saveexec_b64 s[2:3], s[26:27]
	s_cbranch_execz .LBB10_20
; %bb.19:
	v_pk_add_f32 v[8:9], v[0:1], v[4:5]
	v_pk_add_f32 v[10:11], v[2:3], v[6:7]
	v_pk_mul_f32 v[8:9], s[34:35], v[8:9]
	v_pk_mul_f32 v[10:11], s[34:35], v[10:11]
	global_store_dwordx4 v62, v[8:11], s[0:1]
.LBB10_20:
	s_or_b64 exec, exec, s[2:3]
	s_nop 0
	v_pk_add_f32 v[8:9], v[40:41], v[42:43] neg_lo:[0,1] neg_hi:[0,1]
	v_pk_add_f32 v[10:11], v[44:45], v[46:47] neg_lo:[0,1] neg_hi:[0,1]
	;; [unrolled: 1-line block ×4, first 2 shown]
	s_and_saveexec_b64 s[2:3], s[28:29]
	s_cbranch_execz .LBB10_22
; %bb.21:
	v_pk_add_f32 v[16:17], v[8:9], v[10:11]
	v_pk_add_f32 v[18:19], v[12:13], v[14:15]
	v_pk_mul_f32 v[16:17], s[34:35], v[16:17]
	v_pk_mul_f32 v[18:19], s[34:35], v[18:19]
	global_store_dwordx4 v63, v[16:19], s[0:1]
.LBB10_22:
	s_or_b64 exec, exec, s[2:3]
	s_nop 0
	v_pk_add_f32 v[16:17], v[56:57], v[58:59] neg_lo:[0,1] neg_hi:[0,1]
	v_pk_add_f32 v[18:19], v[20:21], v[24:25] neg_lo:[0,1] neg_hi:[0,1]
	;; [unrolled: 1-line block ×4, first 2 shown]
	s_and_saveexec_b64 s[2:3], s[4:5]
	s_cbranch_execnz .LBB10_28
; %bb.23:
	s_or_b64 exec, exec, s[2:3]
	s_and_saveexec_b64 s[2:3], s[6:7]
	s_cbranch_execnz .LBB10_29
.LBB10_24:
	s_or_b64 exec, exec, s[2:3]
	s_and_saveexec_b64 s[2:3], s[8:9]
	s_cbranch_execnz .LBB10_30
.LBB10_25:
	s_or_b64 exec, exec, s[2:3]
	s_and_saveexec_b64 s[2:3], s[10:11]
	s_cbranch_execnz .LBB10_31
.LBB10_26:
	s_or_b64 exec, exec, s[2:3]
	s_and_saveexec_b64 s[2:3], s[12:13]
	s_cbranch_execnz .LBB10_32
.LBB10_27:
	s_endpgm
.LBB10_28:
	v_pk_add_f32 v[24:25], v[16:17], v[18:19]
	v_pk_add_f32 v[26:27], v[20:21], v[22:23]
	v_pk_mul_f32 v[24:25], s[34:35], v[24:25]
	v_pk_mul_f32 v[26:27], s[34:35], v[26:27]
	global_store_dwordx4 v64, v[24:27], s[0:1]
	s_or_b64 exec, exec, s[2:3]
	s_and_saveexec_b64 s[2:3], s[6:7]
	s_cbranch_execz .LBB10_24
.LBB10_29:
	v_pk_add_f32 v[24:25], v[32:33], v[34:35] neg_lo:[0,1] neg_hi:[0,1]
	v_pk_add_f32 v[26:27], v[36:37], v[38:39] neg_lo:[0,1] neg_hi:[0,1]
	v_pk_mul_f32 v[24:25], s[34:35], v[24:25]
	v_pk_mul_f32 v[26:27], s[34:35], v[26:27]
	global_store_dwordx4 v65, v[24:27], s[0:1]
	s_or_b64 exec, exec, s[2:3]
	s_and_saveexec_b64 s[2:3], s[8:9]
	s_cbranch_execz .LBB10_25
.LBB10_30:
	v_pk_add_f32 v[0:1], v[0:1], v[4:5] neg_lo:[0,1] neg_hi:[0,1]
	v_pk_add_f32 v[2:3], v[2:3], v[6:7] neg_lo:[0,1] neg_hi:[0,1]
	v_pk_mul_f32 v[0:1], s[34:35], v[0:1]
	v_pk_mul_f32 v[2:3], s[34:35], v[2:3]
	global_store_dwordx4 v66, v[0:3], s[0:1]
	s_or_b64 exec, exec, s[2:3]
	s_and_saveexec_b64 s[2:3], s[10:11]
	s_cbranch_execz .LBB10_26
.LBB10_31:
	v_pk_add_f32 v[0:1], v[8:9], v[10:11] neg_lo:[0,1] neg_hi:[0,1]
	v_pk_add_f32 v[2:3], v[12:13], v[14:15] neg_lo:[0,1] neg_hi:[0,1]
	v_pk_mul_f32 v[0:1], s[34:35], v[0:1]
	v_pk_mul_f32 v[2:3], s[34:35], v[2:3]
	global_store_dwordx4 v67, v[0:3], s[0:1]
	s_or_b64 exec, exec, s[2:3]
	s_and_saveexec_b64 s[2:3], s[12:13]
	s_cbranch_execz .LBB10_27
.LBB10_32:
	v_pk_add_f32 v[0:1], v[16:17], v[18:19] neg_lo:[0,1] neg_hi:[0,1]
	v_pk_add_f32 v[2:3], v[20:21], v[22:23] neg_lo:[0,1] neg_hi:[0,1]
	v_pk_mul_f32 v[0:1], s[34:35], v[0:1]
	v_pk_mul_f32 v[2:3], s[34:35], v[2:3]
	global_store_dwordx4 v68, v[0:3], s[0:1]
	s_endpgm
	.section	.rodata,"a",@progbits
	.p2align	6, 0x0
	.amdhsa_kernel _Z30fast_hadamard_transform_kernelI37fast_hadamard_transform_kernel_traitsILi256ELi13EfEEv18HadamardParamsBase
		.amdhsa_group_segment_fixed_size 0
		.amdhsa_private_segment_fixed_size 0
		.amdhsa_kernarg_size 312
		.amdhsa_user_sgpr_count 2
		.amdhsa_user_sgpr_dispatch_ptr 0
		.amdhsa_user_sgpr_queue_ptr 0
		.amdhsa_user_sgpr_kernarg_segment_ptr 1
		.amdhsa_user_sgpr_dispatch_id 0
		.amdhsa_user_sgpr_kernarg_preload_length 0
		.amdhsa_user_sgpr_kernarg_preload_offset 0
		.amdhsa_user_sgpr_private_segment_size 0
		.amdhsa_uses_dynamic_stack 0
		.amdhsa_enable_private_segment 0
		.amdhsa_system_sgpr_workgroup_id_x 1
		.amdhsa_system_sgpr_workgroup_id_y 0
		.amdhsa_system_sgpr_workgroup_id_z 0
		.amdhsa_system_sgpr_workgroup_info 0
		.amdhsa_system_vgpr_workitem_id 0
		.amdhsa_next_free_vgpr 74
		.amdhsa_next_free_sgpr 40
		.amdhsa_accum_offset 76
		.amdhsa_reserve_vcc 1
		.amdhsa_float_round_mode_32 0
		.amdhsa_float_round_mode_16_64 0
		.amdhsa_float_denorm_mode_32 3
		.amdhsa_float_denorm_mode_16_64 3
		.amdhsa_dx10_clamp 1
		.amdhsa_ieee_mode 1
		.amdhsa_fp16_overflow 0
		.amdhsa_tg_split 0
		.amdhsa_exception_fp_ieee_invalid_op 0
		.amdhsa_exception_fp_denorm_src 0
		.amdhsa_exception_fp_ieee_div_zero 0
		.amdhsa_exception_fp_ieee_overflow 0
		.amdhsa_exception_fp_ieee_underflow 0
		.amdhsa_exception_fp_ieee_inexact 0
		.amdhsa_exception_int_div_zero 0
	.end_amdhsa_kernel
	.section	.text._Z30fast_hadamard_transform_kernelI37fast_hadamard_transform_kernel_traitsILi256ELi13EfEEv18HadamardParamsBase,"axG",@progbits,_Z30fast_hadamard_transform_kernelI37fast_hadamard_transform_kernel_traitsILi256ELi13EfEEv18HadamardParamsBase,comdat
.Lfunc_end10:
	.size	_Z30fast_hadamard_transform_kernelI37fast_hadamard_transform_kernel_traitsILi256ELi13EfEEv18HadamardParamsBase, .Lfunc_end10-_Z30fast_hadamard_transform_kernelI37fast_hadamard_transform_kernel_traitsILi256ELi13EfEEv18HadamardParamsBase
                                        ; -- End function
	.set _Z30fast_hadamard_transform_kernelI37fast_hadamard_transform_kernel_traitsILi256ELi13EfEEv18HadamardParamsBase.num_vgpr, 74
	.set _Z30fast_hadamard_transform_kernelI37fast_hadamard_transform_kernel_traitsILi256ELi13EfEEv18HadamardParamsBase.num_agpr, 0
	.set _Z30fast_hadamard_transform_kernelI37fast_hadamard_transform_kernel_traitsILi256ELi13EfEEv18HadamardParamsBase.numbered_sgpr, 40
	.set _Z30fast_hadamard_transform_kernelI37fast_hadamard_transform_kernel_traitsILi256ELi13EfEEv18HadamardParamsBase.num_named_barrier, 0
	.set _Z30fast_hadamard_transform_kernelI37fast_hadamard_transform_kernel_traitsILi256ELi13EfEEv18HadamardParamsBase.private_seg_size, 0
	.set _Z30fast_hadamard_transform_kernelI37fast_hadamard_transform_kernel_traitsILi256ELi13EfEEv18HadamardParamsBase.uses_vcc, 1
	.set _Z30fast_hadamard_transform_kernelI37fast_hadamard_transform_kernel_traitsILi256ELi13EfEEv18HadamardParamsBase.uses_flat_scratch, 0
	.set _Z30fast_hadamard_transform_kernelI37fast_hadamard_transform_kernel_traitsILi256ELi13EfEEv18HadamardParamsBase.has_dyn_sized_stack, 0
	.set _Z30fast_hadamard_transform_kernelI37fast_hadamard_transform_kernel_traitsILi256ELi13EfEEv18HadamardParamsBase.has_recursion, 0
	.set _Z30fast_hadamard_transform_kernelI37fast_hadamard_transform_kernel_traitsILi256ELi13EfEEv18HadamardParamsBase.has_indirect_call, 0
	.section	.AMDGPU.csdata,"",@progbits
; Kernel info:
; codeLenInByte = 7896
; TotalNumSgprs: 46
; NumVgprs: 74
; NumAgprs: 0
; TotalNumVgprs: 74
; ScratchSize: 0
; MemoryBound: 0
; FloatMode: 240
; IeeeMode: 1
; LDSByteSize: 0 bytes/workgroup (compile time only)
; SGPRBlocks: 5
; VGPRBlocks: 9
; NumSGPRsForWavesPerEU: 46
; NumVGPRsForWavesPerEU: 74
; AccumOffset: 76
; Occupancy: 6
; WaveLimiterHint : 0
; COMPUTE_PGM_RSRC2:SCRATCH_EN: 0
; COMPUTE_PGM_RSRC2:USER_SGPR: 2
; COMPUTE_PGM_RSRC2:TRAP_HANDLER: 0
; COMPUTE_PGM_RSRC2:TGID_X_EN: 1
; COMPUTE_PGM_RSRC2:TGID_Y_EN: 0
; COMPUTE_PGM_RSRC2:TGID_Z_EN: 0
; COMPUTE_PGM_RSRC2:TIDIG_COMP_CNT: 0
; COMPUTE_PGM_RSRC3_GFX90A:ACCUM_OFFSET: 18
; COMPUTE_PGM_RSRC3_GFX90A:TG_SPLIT: 0
	.section	.text._Z30fast_hadamard_transform_kernelI37fast_hadamard_transform_kernel_traitsILi256ELi14EfEEv18HadamardParamsBase,"axG",@progbits,_Z30fast_hadamard_transform_kernelI37fast_hadamard_transform_kernel_traitsILi256ELi14EfEEv18HadamardParamsBase,comdat
	.protected	_Z30fast_hadamard_transform_kernelI37fast_hadamard_transform_kernel_traitsILi256ELi14EfEEv18HadamardParamsBase ; -- Begin function _Z30fast_hadamard_transform_kernelI37fast_hadamard_transform_kernel_traitsILi256ELi14EfEEv18HadamardParamsBase
	.globl	_Z30fast_hadamard_transform_kernelI37fast_hadamard_transform_kernel_traitsILi256ELi14EfEEv18HadamardParamsBase
	.p2align	8
	.type	_Z30fast_hadamard_transform_kernelI37fast_hadamard_transform_kernel_traitsILi256ELi14EfEEv18HadamardParamsBase,@function
_Z30fast_hadamard_transform_kernelI37fast_hadamard_transform_kernel_traitsILi256ELi14EfEEv18HadamardParamsBase: ; @_Z30fast_hadamard_transform_kernelI37fast_hadamard_transform_kernel_traitsILi256ELi14EfEEv18HadamardParamsBase
; %bb.0:
	s_load_dwordx4 s[52:55], s[0:1], 0x10
	s_load_dword s33, s[0:1], 0x4
	s_load_dwordx4 s[48:51], s[0:1], 0x28
	s_ashr_i32 s3, s2, 31
	s_load_dword s8, s[0:1], 0x44
	s_waitcnt lgkmcnt(0)
	s_mul_hi_u32 s4, s52, s2
	s_mul_i32 s5, s52, s3
	s_add_i32 s4, s4, s5
	s_mul_i32 s5, s53, s2
	s_add_i32 s5, s4, s5
	s_mul_i32 s4, s52, s2
	s_lshl_b64 s[4:5], s[4:5], 2
	s_add_u32 s30, s48, s4
	v_lshlrev_b32_e32 v1, 2, v0
	s_addc_u32 s31, s49, s5
	v_cmp_gt_u32_e64 s[6:7], s33, v1
	v_mov_b32_e32 v2, 0
	v_lshlrev_b32_e32 v126, 4, v0
	v_mov_b32_e32 v6, 0
	v_mov_b32_e32 v7, 0
	;; [unrolled: 1-line block ×4, first 2 shown]
	s_and_saveexec_b64 s[4:5], s[6:7]
	s_cbranch_execz .LBB11_2
; %bb.1:
	global_load_dwordx4 v[6:9], v126, s[30:31]
.LBB11_2:
	s_or_b64 exec, exec, s[4:5]
	s_and_b32 s34, 0xffff, s8
	v_add_u32_e32 v1, s34, v0
	v_lshlrev_b32_e32 v3, 2, v1
	v_cmp_gt_u32_e32 vcc, s33, v3
	v_lshlrev_b32_e32 v140, 4, v1
	v_mov_b32_e32 v3, 0
	v_mov_b32_e32 v4, 0
	;; [unrolled: 1-line block ×3, first 2 shown]
	s_and_saveexec_b64 s[4:5], vcc
	s_cbranch_execz .LBB11_4
; %bb.3:
	global_load_dwordx4 v[2:5], v140, s[30:31]
.LBB11_4:
	s_or_b64 exec, exec, s[4:5]
	v_add_u32_e32 v1, s34, v1
	v_lshlrev_b32_e32 v10, 2, v1
	v_cmp_gt_u32_e64 s[44:45], s33, v10
	v_mov_b32_e32 v10, 0
	v_lshlrev_b32_e32 v142, 4, v1
	v_mov_b32_e32 v14, 0
	v_mov_b32_e32 v15, 0
	v_mov_b32_e32 v16, 0
	v_mov_b32_e32 v17, 0
	s_and_saveexec_b64 s[4:5], s[44:45]
	s_cbranch_execz .LBB11_6
; %bb.5:
	global_load_dwordx4 v[14:17], v142, s[30:31]
.LBB11_6:
	s_or_b64 exec, exec, s[4:5]
	v_add_u32_e32 v1, s34, v1
	v_lshlrev_b32_e32 v11, 2, v1
	v_cmp_gt_u32_e64 s[46:47], s33, v11
	v_lshlrev_b32_e32 v141, 4, v1
	v_mov_b32_e32 v11, 0
	v_mov_b32_e32 v12, 0
	v_mov_b32_e32 v13, 0
	s_and_saveexec_b64 s[4:5], s[46:47]
	s_cbranch_execz .LBB11_8
; %bb.7:
	global_load_dwordx4 v[10:13], v141, s[30:31]
.LBB11_8:
	s_or_b64 exec, exec, s[4:5]
	v_add_u32_e32 v1, s34, v1
	v_lshlrev_b32_e32 v18, 2, v1
	v_cmp_gt_u32_e64 s[4:5], s33, v18
	v_mov_b32_e32 v18, 0
	v_lshlrev_b32_e32 v143, 4, v1
	v_mov_b32_e32 v22, 0
	v_mov_b32_e32 v23, 0
	v_mov_b32_e32 v24, 0
	v_mov_b32_e32 v25, 0
	s_and_saveexec_b64 s[8:9], s[4:5]
	s_cbranch_execz .LBB11_10
; %bb.9:
	global_load_dwordx4 v[22:25], v143, s[30:31]
.LBB11_10:
	s_or_b64 exec, exec, s[8:9]
	v_add_u32_e32 v1, s34, v1
	v_lshlrev_b32_e32 v19, 2, v1
	v_cmp_gt_u32_e64 s[8:9], s33, v19
	v_lshlrev_b32_e32 v144, 4, v1
	v_mov_b32_e32 v19, 0
	v_mov_b32_e32 v20, 0
	v_mov_b32_e32 v21, 0
	s_and_saveexec_b64 s[10:11], s[8:9]
	;; [unrolled: 28-line block ×3, first 2 shown]
	s_cbranch_execz .LBB11_16
; %bb.15:
	global_load_dwordx4 v[26:29], v146, s[30:31]
.LBB11_16:
	s_or_b64 exec, exec, s[14:15]
	v_add_u32_e32 v1, s34, v1
	v_lshlrev_b32_e32 v34, 2, v1
	v_cmp_gt_u32_e64 s[14:15], s33, v34
	v_mov_b32_e32 v70, 0
	v_lshlrev_b32_e32 v147, 4, v1
	v_mov_b32_e32 v72, 0
	v_mov_b32_e32 v73, 0
	;; [unrolled: 1-line block ×4, first 2 shown]
	s_and_saveexec_b64 s[16:17], s[14:15]
	s_cbranch_execz .LBB11_18
; %bb.17:
	global_load_dwordx4 v[34:37], v147, s[30:31]
	s_waitcnt vmcnt(0)
	v_mov_b32_e32 v72, v34
	v_mov_b32_e32 v73, v36
	;; [unrolled: 1-line block ×3, first 2 shown]
.LBB11_18:
	s_or_b64 exec, exec, s[16:17]
	v_add_u32_e32 v1, s34, v1
	v_lshlrev_b32_e32 v34, 2, v1
	v_cmp_gt_u32_e64 s[16:17], s33, v34
	v_lshlrev_b32_e32 v148, 4, v1
	v_mov_b32_e32 v71, 0
	v_mov_b32_e32 v40, 0
	;; [unrolled: 1-line block ×3, first 2 shown]
	s_and_saveexec_b64 s[18:19], s[16:17]
	s_cbranch_execz .LBB11_20
; %bb.19:
	global_load_dwordx4 v[38:41], v148, s[30:31]
	s_waitcnt vmcnt(0)
	v_mov_b32_e32 v70, v38
	v_mov_b32_e32 v71, v40
	v_mov_b32_e32 v40, v39
.LBB11_20:
	s_or_b64 exec, exec, s[18:19]
	v_add_u32_e32 v1, s34, v1
	v_lshlrev_b32_e32 v34, 2, v1
	v_cmp_gt_u32_e64 s[18:19], s33, v34
	v_mov_b32_e32 v34, 0
	v_lshlrev_b32_e32 v149, 4, v1
	v_mov_b32_e32 v38, 0
	v_mov_b32_e32 v39, 0
	;; [unrolled: 1-line block ×4, first 2 shown]
	s_and_saveexec_b64 s[20:21], s[18:19]
	s_cbranch_execz .LBB11_22
; %bb.21:
	global_load_dwordx4 v[42:45], v149, s[30:31]
	s_waitcnt vmcnt(0)
	v_mov_b32_e32 v38, v42
	v_mov_b32_e32 v39, v44
	;; [unrolled: 1-line block ×3, first 2 shown]
.LBB11_22:
	s_or_b64 exec, exec, s[20:21]
	v_add_u32_e32 v1, s34, v1
	v_lshlrev_b32_e32 v35, 2, v1
	v_cmp_gt_u32_e64 s[20:21], s33, v35
	v_lshlrev_b32_e32 v150, 4, v1
	v_mov_b32_e32 v35, 0
	v_mov_b32_e32 v50, 0
	;; [unrolled: 1-line block ×3, first 2 shown]
	s_and_saveexec_b64 s[22:23], s[20:21]
	s_cbranch_execz .LBB11_24
; %bb.23:
	global_load_dwordx4 v[48:51], v150, s[30:31]
	s_waitcnt vmcnt(0)
	v_mov_b32_e32 v34, v48
	v_mov_b32_e32 v35, v50
	;; [unrolled: 1-line block ×3, first 2 shown]
.LBB11_24:
	s_or_b64 exec, exec, s[22:23]
	v_add_u32_e32 v1, s34, v1
	v_lshlrev_b32_e32 v42, 2, v1
	v_cmp_gt_u32_e64 s[22:23], s33, v42
	v_mov_b32_e32 v74, 0
	v_lshlrev_b32_e32 v151, 4, v1
	v_mov_b32_e32 v42, 0
	v_mov_b32_e32 v43, 0
	;; [unrolled: 1-line block ×4, first 2 shown]
	s_and_saveexec_b64 s[24:25], s[22:23]
	s_cbranch_execz .LBB11_26
; %bb.25:
	global_load_dwordx4 v[52:55], v151, s[30:31]
	s_waitcnt vmcnt(0)
	v_mov_b32_e32 v42, v52
	v_mov_b32_e32 v43, v54
	;; [unrolled: 1-line block ×3, first 2 shown]
.LBB11_26:
	s_or_b64 exec, exec, s[24:25]
	v_add_u32_e32 v64, s34, v1
	v_lshlrev_b32_e32 v1, 2, v64
	v_cmp_gt_u32_e64 s[24:25], s33, v1
	v_mov_b32_e32 v75, 0
	v_mov_b32_e32 v58, 0
	;; [unrolled: 1-line block ×3, first 2 shown]
	s_and_saveexec_b64 s[26:27], s[24:25]
	s_cbranch_execz .LBB11_28
; %bb.27:
	v_mov_b32_e32 v65, 0
	v_lshl_add_u64 v[46:47], v[64:65], 4, s[30:31]
	global_load_dwordx4 v[56:59], v[46:47], off
	s_waitcnt vmcnt(0)
	v_mov_b32_e32 v74, v56
	v_mov_b32_e32 v75, v58
	;; [unrolled: 1-line block ×3, first 2 shown]
.LBB11_28:
	s_or_b64 exec, exec, s[26:27]
	v_add_u32_e32 v66, s34, v64
	v_lshlrev_b32_e32 v1, 2, v66
	v_cmp_gt_u32_e64 s[26:27], s33, v1
	v_mov_b32_e32 v46, 0
	v_mov_b32_e32 v52, 0
	;; [unrolled: 1-line block ×5, first 2 shown]
	s_and_saveexec_b64 s[28:29], s[26:27]
	s_cbranch_execz .LBB11_30
; %bb.29:
	v_mov_b32_e32 v67, 0
	v_lshl_add_u64 v[48:49], v[66:67], 4, s[30:31]
	global_load_dwordx4 v[60:63], v[48:49], off
	s_waitcnt vmcnt(0)
	v_mov_b32_e32 v52, v60
	v_mov_b32_e32 v53, v62
	;; [unrolled: 1-line block ×3, first 2 shown]
.LBB11_30:
	s_or_b64 exec, exec, s[28:29]
	s_load_dword s48, s[0:1], 0x20
	v_add_u32_e32 v68, s34, v66
	v_lshlrev_b32_e32 v1, 2, v68
	v_cmp_gt_u32_e64 s[28:29], s33, v1
	v_mov_b32_e32 v47, 0
	v_mov_b32_e32 v48, 0
	;; [unrolled: 1-line block ×3, first 2 shown]
	s_and_saveexec_b64 s[0:1], s[28:29]
	s_cbranch_execz .LBB11_32
; %bb.31:
	v_mov_b32_e32 v69, 0
	v_lshl_add_u64 v[46:47], v[68:69], 4, s[30:31]
	global_load_dwordx4 v[46:49], v[46:47], off
.LBB11_32:
	s_or_b64 exec, exec, s[0:1]
	v_pk_add_f32 v[60:61], v[70:71], v[40:41]
	v_pk_add_f32 v[40:41], v[70:71], v[40:41] neg_lo:[0,1] neg_hi:[0,1]
	v_pk_add_f32 v[70:71], v[38:39], v[44:45]
	v_pk_add_f32 v[38:39], v[38:39], v[44:45] neg_lo:[0,1] neg_hi:[0,1]
	v_pk_add_f32 v[44:45], v[34:35], v[50:51]
	v_pk_add_f32 v[34:35], v[34:35], v[50:51] neg_lo:[0,1] neg_hi:[0,1]
	s_waitcnt vmcnt(0)
	v_add_f32_e32 v1, v8, v9
	v_add_f32_e32 v50, v6, v7
	;; [unrolled: 1-line block ×3, first 2 shown]
	v_sub_f32_e32 v69, v50, v1
	v_add_f32_e32 v1, v4, v5
	v_add_f32_e32 v50, v2, v3
	v_sub_f32_e32 v4, v4, v5
	v_sub_f32_e32 v2, v2, v3
	v_add_f32_e32 v76, v50, v1
	v_sub_f32_e32 v77, v50, v1
	v_add_f32_e32 v1, v16, v17
	v_add_f32_e32 v50, v14, v15
	v_add_f32_e32 v5, v2, v4
	v_sub_f32_e32 v4, v2, v4
	v_sub_f32_e32 v2, v16, v17
	v_sub_f32_e32 v3, v14, v15
	v_add_f32_e32 v78, v50, v1
	v_sub_f32_e32 v79, v50, v1
	v_add_f32_e32 v1, v12, v13
	v_add_f32_e32 v50, v10, v11
	v_add_f32_e32 v14, v3, v2
	v_sub_f32_e32 v15, v3, v2
	;; [unrolled: 8-line block ×5, first 2 shown]
	v_sub_f32_e32 v2, v32, v33
	v_sub_f32_e32 v3, v30, v31
	v_add_f32_e32 v86, v50, v1
	v_sub_f32_e32 v88, v50, v1
	v_add_f32_e32 v50, v26, v27
	v_add_f32_e32 v20, v3, v2
	v_sub_f32_e32 v21, v3, v2
	v_sub_f32_e32 v3, v26, v27
	;; [unrolled: 1-line block ×4, first 2 shown]
	v_add_f32_e32 v1, v28, v29
	v_add_f32_e32 v11, v26, v10
	v_sub_f32_e32 v10, v26, v10
	v_mbcnt_lo_u32_b32 v26, -1, 0
	v_add_f32_e32 v89, v50, v1
	v_sub_f32_e32 v90, v50, v1
	v_add_f32_e32 v1, v48, v49
	v_mbcnt_hi_u32_b32 v48, -1, v26
	v_and_b32_e32 v26, 64, v48
	v_add_u32_e32 v49, 64, v26
	v_xor_b32_e32 v26, 1, v48
	v_cmp_lt_i32_e64 s[0:1], v26, v49
	v_sub_f32_e32 v8, v8, v9
	v_sub_f32_e32 v6, v6, v7
	v_cndmask_b32_e64 v26, v48, v26, s[0:1]
	v_lshlrev_b32_e32 v65, 2, v26
	v_add_f32_e32 v7, v6, v8
	ds_bpermute_b32 v26, v65, v67
	ds_bpermute_b32 v33, v65, v7
	v_and_b32_e32 v30, 1, v0
	v_cmp_eq_u32_e64 s[30:31], 0, v30
	v_pk_add_f32 v[56:57], v[72:73], v[36:37]
	v_pk_add_f32 v[36:37], v[72:73], v[36:37] neg_lo:[0,1] neg_hi:[0,1]
	v_pk_add_f32 v[72:73], v[42:43], v[54:55]
	v_pk_add_f32 v[42:43], v[42:43], v[54:55] neg_lo:[0,1] neg_hi:[0,1]
	;; [unrolled: 2-line block ×3, first 2 shown]
	v_sub_f32_e32 v2, v28, v29
	v_cndmask_b32_e64 v30, -v67, v67, s[30:31]
	v_sub_f32_e32 v6, v6, v8
	v_add_f32_e32 v23, v3, v2
	v_sub_f32_e32 v24, v3, v2
	v_add_f32_e32 v2, v58, v59
	v_sub_f32_e32 v8, v58, v59
	s_waitcnt lgkmcnt(0)
	v_add_f32_e32 v58, v30, v26
	ds_bpermute_b32 v26, v65, v69
	v_cndmask_b32_e64 v7, -v7, v7, s[30:31]
	v_add_f32_e32 v59, v7, v33
	ds_bpermute_b32 v7, v65, v6
	v_cndmask_b32_e64 v30, -v69, v69, s[30:31]
	s_waitcnt lgkmcnt(1)
	v_add_f32_e32 v69, v30, v26
	ds_bpermute_b32 v26, v65, v76
	v_cndmask_b32_e64 v6, -v6, v6, s[30:31]
	s_waitcnt lgkmcnt(1)
	v_add_f32_e32 v99, v6, v7
	ds_bpermute_b32 v6, v65, v5
	v_cndmask_b32_e64 v7, -v76, v76, s[30:31]
	v_pk_add_f32 v[74:75], v[52:53], v[62:63]
	v_pk_add_f32 v[62:63], v[52:53], v[62:63] neg_lo:[0,1] neg_hi:[0,1]
	v_add_f32_e32 v93, v60, v61
	v_sub_f32_e32 v94, v60, v61
	v_add_f32_e32 v53, v54, v55
	v_sub_f32_e32 v60, v54, v55
	s_waitcnt lgkmcnt(1)
	v_add_f32_e32 v54, v7, v26
	ds_bpermute_b32 v7, v65, v77
	v_cndmask_b32_e64 v5, -v5, v5, s[30:31]
	s_waitcnt lgkmcnt(1)
	v_add_f32_e32 v55, v5, v6
	ds_bpermute_b32 v5, v65, v4
	v_cndmask_b32_e64 v6, -v77, v77, s[30:31]
	v_add_f32_e32 v92, v56, v57
	v_sub_f32_e32 v56, v56, v57
	s_waitcnt lgkmcnt(1)
	v_add_f32_e32 v57, v6, v7
	ds_bpermute_b32 v6, v65, v78
	v_cndmask_b32_e64 v4, -v4, v4, s[30:31]
	v_add_f32_e32 v9, v62, v63
	v_sub_f32_e32 v12, v62, v63
	s_waitcnt lgkmcnt(1)
	v_add_f32_e32 v63, v4, v5
	ds_bpermute_b32 v4, v65, v14
	v_cndmask_b32_e64 v5, -v78, v78, s[30:31]
	v_add_f32_e32 v95, v70, v71
	v_sub_f32_e32 v96, v70, v71
	s_waitcnt lgkmcnt(1)
	v_add_f32_e32 v70, v5, v6
	ds_bpermute_b32 v5, v65, v79
	v_cndmask_b32_e64 v6, -v14, v14, s[30:31]
	s_waitcnt lgkmcnt(1)
	v_add_f32_e32 v71, v6, v4
	ds_bpermute_b32 v4, v65, v15
	v_cndmask_b32_e64 v6, -v79, v79, s[30:31]
	v_add_f32_e32 v50, v72, v73
	v_sub_f32_e32 v52, v72, v73
	s_waitcnt lgkmcnt(1)
	v_add_f32_e32 v72, v6, v5
	ds_bpermute_b32 v5, v65, v80
	v_cndmask_b32_e64 v6, -v15, v15, s[30:31]
	s_waitcnt lgkmcnt(1)
	v_add_f32_e32 v73, v6, v4
	ds_bpermute_b32 v4, v65, v13
	v_cndmask_b32_e64 v6, -v80, v80, s[30:31]
	;; [unrolled: 4-line block ×3, first 2 shown]
	s_waitcnt lgkmcnt(1)
	v_add_f32_e32 v91, v6, v4
	ds_bpermute_b32 v6, v65, v16
	ds_bpermute_b32 v7, v65, v82
	;; [unrolled: 1-line block ×3, first 2 shown]
	v_cndmask_b32_e64 v4, -v81, v81, s[30:31]
	s_waitcnt lgkmcnt(3)
	v_add_f32_e32 v4, v4, v5
	v_cndmask_b32_e64 v5, -v16, v16, s[30:31]
	s_waitcnt lgkmcnt(2)
	v_add_f32_e32 v5, v5, v6
	;; [unrolled: 3-line block ×3, first 2 shown]
	ds_bpermute_b32 v14, v65, v83
	v_cndmask_b32_e64 v7, -v17, v17, s[30:31]
	s_waitcnt lgkmcnt(1)
	v_add_f32_e32 v7, v7, v13
	ds_bpermute_b32 v13, v65, v22
	v_cndmask_b32_e64 v15, -v83, v83, s[30:31]
	s_waitcnt lgkmcnt(1)
	v_add_f32_e32 v62, v15, v14
	;; [unrolled: 4-line block ×9, first 2 shown]
	ds_bpermute_b32 v13, v65, v21
	ds_bpermute_b32 v16, v65, v89
	v_cndmask_b32_e64 v15, -v88, v88, s[30:31]
	s_waitcnt lgkmcnt(2)
	v_add_f32_e32 v14, v15, v14
	v_cndmask_b32_e64 v15, -v21, v21, s[30:31]
	s_waitcnt lgkmcnt(1)
	v_add_f32_e32 v15, v15, v13
	v_cndmask_b32_e64 v13, -v89, v89, s[30:31]
	ds_bpermute_b32 v17, v65, v23
	s_waitcnt lgkmcnt(1)
	v_add_f32_e32 v77, v13, v16
	ds_bpermute_b32 v13, v65, v90
	v_cndmask_b32_e64 v16, -v23, v23, s[30:31]
	ds_bpermute_b32 v18, v65, v24
	s_waitcnt lgkmcnt(2)
	v_add_f32_e32 v79, v16, v17
	v_cndmask_b32_e64 v16, -v90, v90, s[30:31]
	s_waitcnt lgkmcnt(1)
	v_add_f32_e32 v78, v16, v13
	v_cndmask_b32_e64 v13, -v24, v24, s[30:31]
	ds_bpermute_b32 v24, v65, v56
	v_cndmask_b32_e64 v26, -v56, v56, s[30:31]
	v_xor_b32_e32 v56, 2, v48
	v_cmp_lt_i32_e64 s[0:1], v56, v49
	v_and_b32_e32 v86, 2, v0
	v_cmp_eq_u32_e64 s[34:35], 0, v86
	v_cndmask_b32_e64 v56, v48, v56, s[0:1]
	v_lshlrev_b32_e32 v67, 2, v56
	ds_bpermute_b32 v56, v67, v58
	ds_bpermute_b32 v86, v67, v59
	v_cndmask_b32_e64 v58, -v58, v58, s[34:35]
	v_cndmask_b32_e64 v59, -v59, v59, s[34:35]
	ds_bpermute_b32 v88, v67, v99
	s_waitcnt lgkmcnt(2)
	v_add_f32_e32 v56, v58, v56
	ds_bpermute_b32 v58, v67, v69
	s_waitcnt lgkmcnt(2)
	v_add_f32_e32 v59, v59, v86
	v_xor_b32_e32 v86, 4, v48
	v_cmp_lt_i32_e64 s[0:1], v86, v49
	v_cndmask_b32_e64 v69, -v69, v69, s[34:35]
	s_waitcnt lgkmcnt(0)
	v_add_f32_e32 v58, v69, v58
	v_cndmask_b32_e64 v86, v48, v86, s[0:1]
	v_cndmask_b32_e64 v69, -v99, v99, s[34:35]
	v_lshlrev_b32_e32 v86, 2, v86
	v_add_f32_e32 v69, v69, v88
	ds_bpermute_b32 v88, v86, v56
	v_and_b32_e32 v89, 4, v0
	v_cmp_eq_u32_e64 s[36:37], 0, v89
	ds_bpermute_b32 v89, v86, v59
	ds_bpermute_b32 v90, v86, v69
	v_cndmask_b32_e64 v56, -v56, v56, s[36:37]
	s_waitcnt lgkmcnt(2)
	v_add_f32_e32 v56, v56, v88
	ds_bpermute_b32 v88, v86, v58
	v_cndmask_b32_e64 v58, -v58, v58, s[36:37]
	v_cndmask_b32_e64 v59, -v59, v59, s[36:37]
	s_waitcnt lgkmcnt(2)
	v_add_f32_e32 v59, v59, v89
	v_cndmask_b32_e64 v69, -v69, v69, s[36:37]
	s_waitcnt lgkmcnt(0)
	v_add_f32_e32 v58, v58, v88
	v_xor_b32_e32 v88, 8, v48
	v_cmp_lt_i32_e64 s[0:1], v88, v49
	v_add_f32_e32 v69, v69, v90
	v_and_b32_e32 v90, 8, v0
	v_cndmask_b32_e64 v88, v48, v88, s[0:1]
	v_lshlrev_b32_e32 v88, 2, v88
	ds_bpermute_b32 v89, v88, v56
	v_cmp_eq_u32_e64 s[38:39], 0, v90
	ds_bpermute_b32 v90, v88, v59
	ds_bpermute_b32 v20, v65, v92
	v_cndmask_b32_e64 v56, -v56, v56, s[38:39]
	s_waitcnt lgkmcnt(2)
	v_add_f32_e32 v56, v56, v89
	ds_bpermute_b32 v89, v88, v58
	v_cndmask_b32_e64 v58, -v58, v58, s[38:39]
	v_cndmask_b32_e64 v22, -v92, v92, s[30:31]
	;; [unrolled: 1-line block ×3, first 2 shown]
	ds_bpermute_b32 v92, v88, v69
	s_waitcnt lgkmcnt(1)
	v_add_f32_e32 v58, v58, v89
	v_xor_b32_e32 v89, 16, v48
	v_cmp_lt_i32_e64 s[0:1], v89, v49
	v_add_f32_e32 v59, v59, v90
	v_and_b32_e32 v90, 16, v0
	v_cndmask_b32_e64 v89, v48, v89, s[0:1]
	v_lshlrev_b32_e32 v89, 2, v89
	v_cmp_eq_u32_e64 s[40:41], 0, v90
	ds_bpermute_b32 v90, v89, v58
	v_cndmask_b32_e64 v69, -v69, v69, s[38:39]
	s_waitcnt lgkmcnt(1)
	v_add_f32_e32 v69, v69, v92
	ds_bpermute_b32 v92, v89, v56
	v_add_f32_e32 v13, v13, v18
	ds_bpermute_b32 v16, v65, v93
	v_cndmask_b32_e64 v18, -v93, v93, s[30:31]
	ds_bpermute_b32 v93, v89, v59
	v_cndmask_b32_e64 v58, -v58, v58, s[40:41]
	s_waitcnt lgkmcnt(3)
	v_add_f32_e32 v58, v58, v90
	v_xor_b32_e32 v90, 32, v48
	v_cmp_lt_i32_e64 s[0:1], v90, v49
	v_cndmask_b32_e64 v56, -v56, v56, s[40:41]
	s_waitcnt lgkmcnt(2)
	v_add_f32_e32 v56, v56, v92
	v_cndmask_b32_e64 v48, v48, v90, s[0:1]
	v_cndmask_b32_e64 v59, -v59, v59, s[40:41]
	v_lshlrev_b32_e32 v90, 2, v48
	s_waitcnt lgkmcnt(0)
	v_add_f32_e32 v59, v59, v93
	ds_bpermute_b32 v48, v90, v56
	ds_bpermute_b32 v93, v90, v59
	v_and_b32_e32 v49, 32, v0
	v_cmp_eq_u32_e64 s[42:43], 0, v49
	v_add_f32_e32 v28, v40, v41
	v_sub_f32_e32 v29, v40, v41
	v_cndmask_b32_e64 v49, -v56, v56, s[42:43]
	s_waitcnt lgkmcnt(1)
	v_add_f32_e32 v92, v49, v48
	ds_bpermute_b32 v48, v90, v58
	v_cndmask_b32_e64 v49, -v59, v59, s[42:43]
	s_waitcnt lgkmcnt(1)
	v_add_f32_e32 v93, v49, v93
	ds_bpermute_b32 v49, v89, v69
	v_cndmask_b32_e64 v56, -v58, v58, s[42:43]
	v_add_f32_e32 v51, v42, v43
	v_sub_f32_e32 v3, v42, v43
	ds_bpermute_b32 v40, v65, v94
	v_cndmask_b32_e64 v42, -v94, v94, s[30:31]
	s_waitcnt lgkmcnt(2)
	v_add_f32_e32 v94, v56, v48
	v_cndmask_b32_e64 v56, -v69, v69, s[40:41]
	s_waitcnt lgkmcnt(1)
	v_add_f32_e32 v56, v56, v49
	ds_bpermute_b32 v58, v90, v56
	ds_bpermute_b32 v59, v67, v54
	v_cndmask_b32_e64 v56, -v56, v56, s[42:43]
	ds_bpermute_b32 v17, v65, v28
	v_cndmask_b32_e64 v19, -v28, v28, s[30:31]
	;; [unrolled: 2-line block ×3, first 2 shown]
	s_waitcnt lgkmcnt(3)
	v_add_f32_e32 v95, v56, v58
	ds_bpermute_b32 v58, v67, v55
	v_cndmask_b32_e64 v54, -v54, v54, s[34:35]
	s_waitcnt lgkmcnt(3)
	v_add_f32_e32 v54, v54, v59
	ds_bpermute_b32 v59, v67, v57
	v_cndmask_b32_e64 v55, -v55, v55, s[34:35]
	;; [unrolled: 4-line block ×9, first 2 shown]
	s_waitcnt lgkmcnt(1)
	v_add_f32_e32 v57, v57, v59
	ds_bpermute_b32 v59, v89, v55
	v_lshrrev_b32_e32 v56, 6, v0
	v_cndmask_b32_e64 v54, -v54, v54, s[40:41]
	v_xor_b32_e32 v56, v56, v0
	s_waitcnt lgkmcnt(1)
	v_add_f32_e32 v54, v54, v58
	v_cndmask_b32_e64 v55, -v55, v55, s[40:41]
	v_lshl_add_u32 v69, v56, 4, 0
	ds_bpermute_b32 v58, v89, v57
	s_waitcnt lgkmcnt(1)
	v_add_f32_e32 v55, v55, v59
	ds_bpermute_b32 v59, v90, v54
	s_waitcnt lgkmcnt(0)
	s_barrier
	ds_write_b128 v69, v[92:95]
	ds_bpermute_b32 v93, v90, v55
	v_cndmask_b32_e64 v57, -v57, v57, s[40:41]
	v_cndmask_b32_e64 v54, -v54, v54, s[42:43]
	v_add_f32_e32 v94, v57, v58
	v_add_f32_e32 v92, v54, v59
	v_cndmask_b32_e64 v54, -v55, v55, s[42:43]
	s_waitcnt lgkmcnt(0)
	v_add_f32_e32 v93, v54, v93
	ds_bpermute_b32 v54, v90, v94
	ds_bpermute_b32 v57, v65, v3
	v_cndmask_b32_e64 v59, -v3, v3, s[30:31]
	v_cndmask_b32_e64 v3, -v94, v94, s[42:43]
	ds_bpermute_b32 v56, v65, v52
	s_waitcnt lgkmcnt(2)
	v_add_f32_e32 v94, v3, v54
	ds_bpermute_b32 v3, v67, v63
	v_cndmask_b32_e64 v63, -v63, v63, s[34:35]
	v_cndmask_b32_e64 v58, -v52, v52, s[30:31]
	ds_bpermute_b32 v52, v65, v53
	v_cndmask_b32_e64 v54, -v53, v53, s[30:31]
	ds_bpermute_b32 v53, v65, v2
	;; [unrolled: 2-line block ×3, first 2 shown]
	s_waitcnt lgkmcnt(3)
	v_add_f32_e32 v3, v63, v3
	ds_bpermute_b32 v63, v67, v71
	v_cndmask_b32_e64 v70, -v70, v70, s[34:35]
	v_cndmask_b32_e64 v71, -v71, v71, s[34:35]
	s_waitcnt lgkmcnt(1)
	v_add_f32_e32 v2, v70, v2
	ds_bpermute_b32 v70, v67, v72
	s_waitcnt lgkmcnt(1)
	v_add_f32_e32 v63, v71, v63
	ds_bpermute_b32 v71, v67, v73
	v_cndmask_b32_e64 v72, -v72, v72, s[34:35]
	v_cndmask_b32_e64 v73, -v73, v73, s[34:35]
	s_waitcnt lgkmcnt(1)
	v_add_f32_e32 v70, v72, v70
	ds_bpermute_b32 v72, v67, v87
	;; [unrolled: 8-line block ×11, first 2 shown]
	s_waitcnt lgkmcnt(1)
	v_add_f32_e32 v2, v2, v91
	ds_bpermute_b32 v91, v89, v70
	ds_bpermute_b32 v95, v90, v3
	v_cndmask_b32_e64 v70, -v70, v70, s[40:41]
	v_cndmask_b32_e64 v63, -v63, v63, s[40:41]
	;; [unrolled: 1-line block ×3, first 2 shown]
	s_waitcnt lgkmcnt(1)
	v_add_f32_e32 v70, v70, v91
	ds_bpermute_b32 v91, v89, v72
	v_add_f32_e32 v63, v63, v87
	ds_bpermute_b32 v87, v89, v71
	s_waitcnt lgkmcnt(2)
	v_add_f32_e32 v95, v3, v95
	ds_bpermute_b32 v3, v90, v2
	v_cndmask_b32_e64 v72, -v72, v72, s[40:41]
	v_cndmask_b32_e64 v71, -v71, v71, s[40:41]
	s_waitcnt lgkmcnt(2)
	v_add_f32_e32 v72, v72, v91
	ds_bpermute_b32 v91, v90, v63
	v_cndmask_b32_e64 v2, -v2, v2, s[42:43]
	s_waitcnt lgkmcnt(2)
	v_add_f32_e32 v71, v71, v87
	ds_write_b128 v69, v[92:95] offset:4096
	s_waitcnt lgkmcnt(2)
	v_add_f32_e32 v92, v2, v3
	ds_bpermute_b32 v2, v90, v70
	v_cndmask_b32_e64 v3, -v63, v63, s[42:43]
	ds_bpermute_b32 v63, v90, v71
	s_waitcnt lgkmcnt(3)
	v_add_f32_e32 v93, v3, v91
	v_cndmask_b32_e64 v3, -v70, v70, s[42:43]
	ds_bpermute_b32 v87, v89, v73
	s_waitcnt lgkmcnt(2)
	v_add_f32_e32 v94, v3, v2
	v_cndmask_b32_e64 v3, -v71, v71, s[42:43]
	s_waitcnt lgkmcnt(1)
	v_add_f32_e32 v95, v3, v63
	ds_bpermute_b32 v63, v67, v5
	v_cndmask_b32_e64 v73, -v73, v73, s[40:41]
	s_waitcnt lgkmcnt(1)
	v_add_f32_e32 v73, v73, v87
	ds_bpermute_b32 v87, v67, v4
	ds_bpermute_b32 v71, v67, v6
	v_cndmask_b32_e64 v5, -v5, v5, s[34:35]
	s_waitcnt lgkmcnt(2)
	v_add_f32_e32 v5, v5, v63
	ds_bpermute_b32 v63, v67, v7
	v_cndmask_b32_e64 v4, -v4, v4, s[34:35]
	v_cndmask_b32_e64 v6, -v6, v6, s[34:35]
	s_waitcnt lgkmcnt(2)
	v_add_f32_e32 v4, v4, v87
	s_waitcnt lgkmcnt(1)
	v_add_f32_e32 v6, v6, v71
	ds_bpermute_b32 v71, v67, v62
	v_cndmask_b32_e64 v7, -v7, v7, s[34:35]
	s_waitcnt lgkmcnt(1)
	v_add_f32_e32 v7, v7, v63
	ds_bpermute_b32 v63, v86, v4
	v_cndmask_b32_e64 v62, -v62, v62, s[34:35]
	s_waitcnt lgkmcnt(1)
	v_add_f32_e32 v62, v62, v71
	ds_bpermute_b32 v71, v86, v5
	v_cndmask_b32_e64 v4, -v4, v4, s[36:37]
	s_waitcnt lgkmcnt(1)
	v_add_f32_e32 v4, v4, v63
	ds_bpermute_b32 v63, v86, v6
	v_cndmask_b32_e64 v5, -v5, v5, s[36:37]
	s_waitcnt lgkmcnt(1)
	v_add_f32_e32 v5, v5, v71
	ds_bpermute_b32 v71, v86, v7
	v_cndmask_b32_e64 v6, -v6, v6, s[36:37]
	s_waitcnt lgkmcnt(1)
	v_add_f32_e32 v6, v6, v63
	ds_bpermute_b32 v63, v86, v62
	v_cndmask_b32_e64 v7, -v7, v7, s[36:37]
	s_waitcnt lgkmcnt(1)
	v_add_f32_e32 v7, v7, v71
	ds_bpermute_b32 v71, v88, v4
	v_cndmask_b32_e64 v62, -v62, v62, s[36:37]
	s_waitcnt lgkmcnt(1)
	v_add_f32_e32 v62, v62, v63
	ds_bpermute_b32 v63, v88, v5
	v_cndmask_b32_e64 v4, -v4, v4, s[38:39]
	s_waitcnt lgkmcnt(1)
	v_add_f32_e32 v4, v4, v71
	ds_bpermute_b32 v71, v88, v6
	v_cndmask_b32_e64 v5, -v5, v5, s[38:39]
	s_waitcnt lgkmcnt(1)
	v_add_f32_e32 v5, v5, v63
	ds_bpermute_b32 v63, v88, v7
	v_cndmask_b32_e64 v6, -v6, v6, s[38:39]
	s_waitcnt lgkmcnt(1)
	v_add_f32_e32 v6, v6, v71
	ds_bpermute_b32 v71, v88, v62
	v_cndmask_b32_e64 v7, -v7, v7, s[38:39]
	s_waitcnt lgkmcnt(1)
	v_add_f32_e32 v7, v7, v63
	ds_bpermute_b32 v63, v89, v4
	v_cndmask_b32_e64 v62, -v62, v62, s[38:39]
	s_waitcnt lgkmcnt(1)
	v_add_f32_e32 v62, v62, v71
	ds_bpermute_b32 v71, v89, v5
	v_cndmask_b32_e64 v4, -v4, v4, s[40:41]
	s_waitcnt lgkmcnt(1)
	v_add_f32_e32 v4, v4, v63
	ds_bpermute_b32 v63, v89, v6
	v_cndmask_b32_e64 v5, -v5, v5, s[40:41]
	s_waitcnt lgkmcnt(1)
	v_add_f32_e32 v5, v5, v71
	ds_bpermute_b32 v71, v89, v7
	v_cndmask_b32_e64 v6, -v6, v6, s[40:41]
	s_waitcnt lgkmcnt(1)
	v_add_f32_e32 v6, v6, v63
	ds_bpermute_b32 v63, v89, v62
	v_cndmask_b32_e64 v7, -v7, v7, s[40:41]
	s_waitcnt lgkmcnt(1)
	v_add_f32_e32 v7, v7, v71
	ds_bpermute_b32 v71, v90, v4
	v_cndmask_b32_e64 v62, -v62, v62, s[40:41]
	s_waitcnt lgkmcnt(1)
	v_add_f32_e32 v62, v62, v63
	ds_bpermute_b32 v63, v90, v5
	v_cndmask_b32_e64 v4, -v4, v4, s[42:43]
	ds_bpermute_b32 v2, v90, v72
	s_waitcnt lgkmcnt(2)
	v_add_f32_e32 v4, v4, v71
	ds_bpermute_b32 v71, v90, v6
	v_cndmask_b32_e64 v5, -v5, v5, s[42:43]
	ds_bpermute_b32 v70, v90, v73
	v_cndmask_b32_e64 v3, -v72, v72, s[42:43]
	ds_bpermute_b32 v72, v90, v7
	s_waitcnt lgkmcnt(4)
	v_add_f32_e32 v5, v5, v63
	ds_bpermute_b32 v63, v90, v62
	v_cndmask_b32_e64 v6, -v6, v6, s[42:43]
	v_add_f32_e32 v61, v74, v75
	s_waitcnt lgkmcnt(4)
	v_add_f32_e32 v2, v3, v2
	v_cndmask_b32_e64 v3, -v73, v73, s[42:43]
	s_waitcnt lgkmcnt(3)
	v_add_f32_e32 v6, v6, v71
	v_cndmask_b32_e64 v7, -v7, v7, s[42:43]
	ds_bpermute_b32 v71, v65, v8
	v_cndmask_b32_e64 v73, -v8, v8, s[30:31]
	v_cndmask_b32_e64 v8, -v62, v62, s[42:43]
	ds_bpermute_b32 v87, v67, v76
	s_waitcnt lgkmcnt(4)
	v_add_f32_e32 v3, v3, v70
	ds_bpermute_b32 v70, v65, v60
	s_waitcnt lgkmcnt(4)
	v_add_f32_e32 v7, v7, v72
	v_cndmask_b32_e64 v72, -v60, v60, s[30:31]
	s_waitcnt lgkmcnt(3)
	v_add_f32_e32 v8, v8, v63
	ds_bpermute_b32 v60, v65, v61
	v_cndmask_b32_e64 v62, -v61, v61, s[30:31]
	ds_bpermute_b32 v61, v65, v9
	v_cndmask_b32_e64 v63, -v9, v9, s[30:31]
	ds_bpermute_b32 v9, v67, v80
	v_cndmask_b32_e64 v76, -v76, v76, s[34:35]
	s_waitcnt lgkmcnt(4)
	v_add_f32_e32 v76, v76, v87
	ds_bpermute_b32 v87, v67, v81
	v_cndmask_b32_e64 v80, -v80, v80, s[34:35]
	s_waitcnt lgkmcnt(1)
	v_add_f32_e32 v9, v80, v9
	ds_bpermute_b32 v80, v67, v82
	v_cndmask_b32_e64 v81, -v81, v81, s[34:35]
	;; [unrolled: 4-line block ×17, first 2 shown]
	s_waitcnt lgkmcnt(1)
	v_add_f32_e32 v80, v80, v85
	ds_bpermute_b32 v85, v88, v82
	v_add_f32_e32 v97, v44, v45
	v_sub_f32_e32 v45, v44, v45
	v_add_f32_e32 v44, v46, v47
	v_cndmask_b32_e64 v83, -v83, v83, s[38:39]
	v_sub_f32_e32 v74, v74, v75
	v_add_f32_e32 v75, v44, v1
	v_sub_f32_e32 v1, v44, v1
	v_sub_f32_e32 v32, v38, v39
	v_add_f32_e32 v44, v34, v35
	v_sub_f32_e32 v98, v34, v35
	s_waitcnt lgkmcnt(1)
	v_add_f32_e32 v83, v83, v87
	ds_bpermute_b32 v87, v88, v84
	v_cndmask_b32_e64 v82, -v82, v82, s[38:39]
	v_add_f32_e32 v25, v36, v37
	v_sub_f32_e32 v27, v36, v37
	v_add_f32_e32 v31, v38, v39
	ds_bpermute_b32 v37, v65, v32
	v_cndmask_b32_e64 v39, -v32, v32, s[30:31]
	ds_bpermute_b32 v32, v65, v97
	ds_bpermute_b32 v33, v65, v44
	v_cndmask_b32_e64 v35, -v44, v44, s[30:31]
	ds_bpermute_b32 v44, v65, v45
	v_cndmask_b32_e64 v46, -v45, v45, s[30:31]
	ds_bpermute_b32 v45, v65, v98
	s_waitcnt lgkmcnt(6)
	v_add_f32_e32 v82, v82, v85
	ds_bpermute_b32 v85, v89, v76
	v_cndmask_b32_e64 v84, -v84, v84, s[38:39]
	v_cndmask_b32_e64 v34, -v97, v97, s[30:31]
	;; [unrolled: 1-line block ×3, first 2 shown]
	s_waitcnt lgkmcnt(6)
	v_add_f32_e32 v84, v84, v87
	ds_bpermute_b32 v87, v89, v9
	v_cndmask_b32_e64 v76, -v76, v76, s[40:41]
	s_waitcnt lgkmcnt(1)
	v_add_f32_e32 v76, v76, v85
	ds_bpermute_b32 v85, v89, v81
	v_pk_add_f32 v[44:45], v[46:47], v[44:45]
	v_pk_add_f32 v[32:33], v[34:35], v[32:33]
	ds_bpermute_b32 v34, v67, v32
	ds_bpermute_b32 v35, v67, v33
	;; [unrolled: 1-line block ×4, first 2 shown]
	v_cndmask_b32_e64 v9, -v9, v9, s[40:41]
	s_waitcnt lgkmcnt(5)
	v_add_f32_e32 v87, v9, v87
	ds_bpermute_b32 v9, v89, v80
	v_cndmask_b32_e64 v81, -v81, v81, s[40:41]
	s_waitcnt lgkmcnt(5)
	v_add_f32_e32 v81, v81, v85
	ds_bpermute_b32 v85, v89, v83
	v_cndmask_b32_e64 v33, -v33, v33, s[34:35]
	v_cndmask_b32_e64 v32, -v32, v32, s[34:35]
	;; [unrolled: 1-line block ×4, first 2 shown]
	s_waitcnt lgkmcnt(2)
	v_pk_add_f32 v[44:45], v[44:45], v[46:47]
	v_pk_add_f32 v[32:33], v[32:33], v[34:35]
	ds_bpermute_b32 v34, v86, v32
	ds_bpermute_b32 v35, v86, v33
	;; [unrolled: 1-line block ×4, first 2 shown]
	v_cndmask_b32_e64 v80, -v80, v80, s[40:41]
	s_waitcnt lgkmcnt(5)
	v_add_f32_e32 v80, v80, v9
	v_cndmask_b32_e64 v9, -v83, v83, s[40:41]
	ds_bpermute_b32 v83, v89, v82
	s_waitcnt lgkmcnt(5)
	v_add_f32_e32 v85, v9, v85
	ds_bpermute_b32 v9, v89, v84
	v_cndmask_b32_e64 v33, -v33, v33, s[36:37]
	v_cndmask_b32_e64 v32, -v32, v32, s[36:37]
	;; [unrolled: 1-line block ×4, first 2 shown]
	s_waitcnt lgkmcnt(2)
	v_pk_add_f32 v[44:45], v[44:45], v[46:47]
	v_pk_add_f32 v[32:33], v[32:33], v[34:35]
	v_cndmask_b32_e64 v82, -v82, v82, s[40:41]
	ds_bpermute_b32 v34, v88, v32
	ds_bpermute_b32 v35, v88, v33
	;; [unrolled: 1-line block ×5, first 2 shown]
	s_waitcnt lgkmcnt(6)
	v_add_f32_e32 v82, v82, v83
	v_cndmask_b32_e64 v83, -v84, v84, s[40:41]
	s_waitcnt lgkmcnt(5)
	v_add_f32_e32 v83, v83, v9
	v_cndmask_b32_e64 v9, -v76, v76, s[42:43]
	ds_bpermute_b32 v76, v90, v87
	v_cndmask_b32_e64 v33, -v33, v33, s[38:39]
	v_cndmask_b32_e64 v32, -v32, v32, s[38:39]
	v_cndmask_b32_e64 v45, -v45, v45, s[38:39]
	v_cndmask_b32_e64 v44, -v44, v44, s[38:39]
	s_waitcnt lgkmcnt(2)
	v_pk_add_f32 v[44:45], v[44:45], v[46:47]
	v_pk_add_f32 v[32:33], v[32:33], v[34:35]
	s_waitcnt lgkmcnt(1)
	v_add_f32_e32 v9, v9, v91
	ds_bpermute_b32 v91, v90, v81
	v_cndmask_b32_e64 v87, -v87, v87, s[42:43]
	ds_bpermute_b32 v34, v89, v32
	ds_bpermute_b32 v35, v89, v33
	;; [unrolled: 1-line block ×4, first 2 shown]
	ds_write_b128 v69, v[92:95] offset:8192
	s_waitcnt lgkmcnt(6)
	v_add_f32_e32 v92, v87, v76
	ds_bpermute_b32 v76, v90, v80
	v_cndmask_b32_e64 v81, -v81, v81, s[42:43]
	v_cndmask_b32_e64 v33, -v33, v33, s[40:41]
	v_cndmask_b32_e64 v32, -v32, v32, s[40:41]
	v_cndmask_b32_e64 v45, -v45, v45, s[40:41]
	v_cndmask_b32_e64 v44, -v44, v44, s[40:41]
	s_waitcnt lgkmcnt(6)
	v_add_f32_e32 v93, v81, v91
	v_cndmask_b32_e64 v80, -v80, v80, s[42:43]
	ds_bpermute_b32 v81, v90, v85
	s_waitcnt lgkmcnt(3)
	v_pk_add_f32 v[44:45], v[44:45], v[46:47]
	v_pk_add_f32 v[32:33], v[32:33], v[34:35]
	ds_bpermute_b32 v48, v65, v50
	ds_bpermute_b32 v49, v65, v51
	s_waitcnt lgkmcnt(3)
	v_add_f32_e32 v94, v80, v76
	ds_bpermute_b32 v76, v90, v82
	ds_bpermute_b32 v46, v90, v32
	;; [unrolled: 1-line block ×5, first 2 shown]
	v_cndmask_b32_e64 v80, -v85, v85, s[42:43]
	v_cndmask_b32_e64 v50, -v50, v50, s[30:31]
	v_cndmask_b32_e64 v51, -v51, v51, s[30:31]
	s_waitcnt lgkmcnt(7)
	v_add_f32_e32 v95, v80, v81
	v_cndmask_b32_e64 v80, -v82, v82, s[42:43]
	v_cndmask_b32_e64 v33, -v33, v33, s[42:43]
	;; [unrolled: 1-line block ×5, first 2 shown]
	ds_bpermute_b32 v36, v65, v96
	v_cndmask_b32_e64 v38, -v96, v96, s[30:31]
	s_waitcnt lgkmcnt(5)
	v_add_f32_e32 v96, v80, v76
	ds_bpermute_b32 v80, v67, v15
	s_waitcnt lgkmcnt(2)
	v_pk_add_f32 v[34:35], v[44:45], v[34:35]
	v_pk_add_f32 v[32:33], v[32:33], v[46:47]
	;; [unrolled: 1-line block ×4, first 2 shown]
	ds_bpermute_b32 v48, v67, v46
	ds_bpermute_b32 v49, v67, v47
	;; [unrolled: 1-line block ×5, first 2 shown]
	v_cndmask_b32_e64 v15, -v15, v15, s[34:35]
	ds_bpermute_b32 v81, v67, v77
	s_waitcnt lgkmcnt(6)
	v_add_f32_e32 v15, v15, v80
	ds_bpermute_b32 v80, v67, v79
	v_cndmask_b32_e64 v47, -v47, v47, s[34:35]
	v_cndmask_b32_e64 v46, -v46, v46, s[34:35]
	;; [unrolled: 1-line block ×4, first 2 shown]
	s_waitcnt lgkmcnt(3)
	v_pk_add_f32 v[44:45], v[44:45], v[50:51]
	v_pk_add_f32 v[46:47], v[46:47], v[48:49]
	ds_bpermute_b32 v48, v86, v46
	ds_bpermute_b32 v49, v86, v47
	;; [unrolled: 1-line block ×4, first 2 shown]
	v_cndmask_b32_e64 v14, -v14, v14, s[34:35]
	s_waitcnt lgkmcnt(6)
	v_add_f32_e32 v14, v14, v84
	v_cndmask_b32_e64 v77, -v77, v77, s[34:35]
	v_cndmask_b32_e64 v79, -v79, v79, s[34:35]
	s_waitcnt lgkmcnt(5)
	v_add_f32_e32 v77, v77, v81
	ds_bpermute_b32 v81, v67, v78
	s_waitcnt lgkmcnt(5)
	v_add_f32_e32 v79, v79, v80
	ds_bpermute_b32 v80, v86, v14
	v_cndmask_b32_e64 v47, -v47, v47, s[36:37]
	v_cndmask_b32_e64 v46, -v46, v46, s[36:37]
	;; [unrolled: 1-line block ×4, first 2 shown]
	s_waitcnt lgkmcnt(2)
	v_pk_add_f32 v[44:45], v[44:45], v[50:51]
	v_pk_add_f32 v[46:47], v[46:47], v[48:49]
	ds_bpermute_b32 v48, v88, v46
	ds_bpermute_b32 v49, v88, v47
	;; [unrolled: 1-line block ×4, first 2 shown]
	v_cndmask_b32_e64 v78, -v78, v78, s[34:35]
	v_cndmask_b32_e64 v14, -v14, v14, s[36:37]
	s_waitcnt lgkmcnt(5)
	v_add_f32_e32 v78, v78, v81
	ds_bpermute_b32 v81, v86, v15
	s_waitcnt lgkmcnt(5)
	v_add_f32_e32 v14, v14, v80
	ds_bpermute_b32 v80, v86, v77
	v_cndmask_b32_e64 v47, -v47, v47, s[38:39]
	v_cndmask_b32_e64 v46, -v46, v46, s[38:39]
	;; [unrolled: 1-line block ×4, first 2 shown]
	s_waitcnt lgkmcnt(2)
	v_pk_add_f32 v[44:45], v[44:45], v[50:51]
	v_pk_add_f32 v[46:47], v[46:47], v[48:49]
	v_cndmask_b32_e64 v15, -v15, v15, s[36:37]
	v_cndmask_b32_e64 v77, -v77, v77, s[36:37]
	ds_bpermute_b32 v48, v89, v46
	ds_bpermute_b32 v49, v89, v47
	;; [unrolled: 1-line block ×4, first 2 shown]
	s_waitcnt lgkmcnt(5)
	v_add_f32_e32 v15, v15, v81
	ds_bpermute_b32 v81, v86, v79
	s_waitcnt lgkmcnt(5)
	v_add_f32_e32 v77, v77, v80
	ds_bpermute_b32 v80, v86, v78
	v_cndmask_b32_e64 v47, -v47, v47, s[40:41]
	v_cndmask_b32_e64 v46, -v46, v46, s[40:41]
	v_cndmask_b32_e64 v45, -v45, v45, s[40:41]
	v_cndmask_b32_e64 v44, -v44, v44, s[40:41]
	v_cndmask_b32_e64 v79, -v79, v79, s[36:37]
	v_cndmask_b32_e64 v78, -v78, v78, s[36:37]
	s_waitcnt lgkmcnt(2)
	v_pk_add_f32 v[44:45], v[44:45], v[50:51]
	v_pk_add_f32 v[46:47], v[46:47], v[48:49]
	s_waitcnt lgkmcnt(1)
	v_add_f32_e32 v79, v79, v81
	ds_bpermute_b32 v81, v88, v14
	s_waitcnt lgkmcnt(1)
	v_add_f32_e32 v78, v78, v80
	ds_bpermute_b32 v80, v88, v15
	ds_bpermute_b32 v48, v90, v46
	;; [unrolled: 1-line block ×5, first 2 shown]
	v_cndmask_b32_e64 v14, -v14, v14, s[38:39]
	v_cndmask_b32_e64 v15, -v15, v15, s[38:39]
	;; [unrolled: 1-line block ×6, first 2 shown]
	s_waitcnt lgkmcnt(5)
	v_add_f32_e32 v14, v14, v81
	ds_bpermute_b32 v81, v88, v77
	s_waitcnt lgkmcnt(5)
	v_add_f32_e32 v15, v15, v80
	ds_bpermute_b32 v80, v88, v79
	s_waitcnt lgkmcnt(2)
	v_pk_add_f32 v[46:47], v[44:45], v[50:51]
	v_pk_add_f32 v[44:45], v[56:57], v[48:49]
	;; [unrolled: 1-line block ×4, first 2 shown]
	ds_bpermute_b32 v52, v67, v50
	ds_bpermute_b32 v53, v67, v51
	ds_bpermute_b32 v54, v67, v48
	ds_bpermute_b32 v55, v67, v49
	v_cndmask_b32_e64 v77, -v77, v77, s[38:39]
	v_cndmask_b32_e64 v79, -v79, v79, s[38:39]
	s_waitcnt lgkmcnt(5)
	v_add_f32_e32 v77, v77, v81
	ds_bpermute_b32 v81, v88, v78
	s_waitcnt lgkmcnt(5)
	v_add_f32_e32 v79, v79, v80
	ds_bpermute_b32 v80, v89, v14
	v_cndmask_b32_e64 v51, -v51, v51, s[34:35]
	v_cndmask_b32_e64 v50, -v50, v50, s[34:35]
	v_cndmask_b32_e64 v49, -v49, v49, s[34:35]
	v_cndmask_b32_e64 v48, -v48, v48, s[34:35]
	s_waitcnt lgkmcnt(2)
	v_pk_add_f32 v[48:49], v[48:49], v[54:55]
	v_pk_add_f32 v[50:51], v[50:51], v[52:53]
	ds_bpermute_b32 v52, v86, v50
	ds_bpermute_b32 v53, v86, v51
	ds_bpermute_b32 v54, v86, v48
	ds_bpermute_b32 v55, v86, v49
	v_cndmask_b32_e64 v78, -v78, v78, s[38:39]
	v_cndmask_b32_e64 v14, -v14, v14, s[40:41]
	s_waitcnt lgkmcnt(5)
	v_add_f32_e32 v78, v78, v81
	ds_bpermute_b32 v81, v89, v15
	s_waitcnt lgkmcnt(5)
	v_add_f32_e32 v14, v14, v80
	ds_bpermute_b32 v80, v89, v77
	v_cndmask_b32_e64 v51, -v51, v51, s[36:37]
	v_cndmask_b32_e64 v50, -v50, v50, s[36:37]
	v_cndmask_b32_e64 v49, -v49, v49, s[36:37]
	v_cndmask_b32_e64 v48, -v48, v48, s[36:37]
	s_waitcnt lgkmcnt(2)
	v_pk_add_f32 v[48:49], v[48:49], v[54:55]
	v_pk_add_f32 v[50:51], v[50:51], v[52:53]
	;; [unrolled: 19-line block ×3, first 2 shown]
	v_cndmask_b32_e64 v79, -v79, v79, s[40:41]
	v_cndmask_b32_e64 v78, -v78, v78, s[40:41]
	ds_bpermute_b32 v52, v89, v50
	ds_bpermute_b32 v53, v89, v51
	;; [unrolled: 1-line block ×5, first 2 shown]
	s_waitcnt lgkmcnt(6)
	v_add_f32_e32 v79, v79, v81
	ds_bpermute_b32 v81, v90, v14
	s_waitcnt lgkmcnt(6)
	v_add_f32_e32 v78, v78, v80
	ds_bpermute_b32 v80, v90, v15
	v_cndmask_b32_e64 v51, -v51, v51, s[40:41]
	v_cndmask_b32_e64 v50, -v50, v50, s[40:41]
	;; [unrolled: 1-line block ×7, first 2 shown]
	s_waitcnt lgkmcnt(3)
	v_pk_add_f32 v[48:49], v[48:49], v[54:55]
	v_pk_add_f32 v[50:51], v[50:51], v[52:53]
	s_waitcnt lgkmcnt(2)
	v_add_f32_e32 v97, v76, v85
	ds_bpermute_b32 v76, v65, v74
	s_waitcnt lgkmcnt(2)
	v_add_f32_e32 v98, v14, v81
	ds_bpermute_b32 v14, v90, v77
	s_waitcnt lgkmcnt(2)
	v_add_f32_e32 v99, v15, v80
	v_cndmask_b32_e64 v15, -v77, v77, s[42:43]
	ds_bpermute_b32 v77, v65, v12
	ds_bpermute_b32 v52, v90, v50
	;; [unrolled: 1-line block ×5, first 2 shown]
	v_cndmask_b32_e64 v84, -v74, v74, s[30:31]
	v_cndmask_b32_e64 v85, -v12, v12, s[30:31]
	;; [unrolled: 1-line block ×6, first 2 shown]
	s_waitcnt lgkmcnt(0)
	v_pk_add_f32 v[50:51], v[48:49], v[54:55]
	v_pk_add_f32 v[48:49], v[56:57], v[52:53]
	;; [unrolled: 1-line block ×4, first 2 shown]
	ds_bpermute_b32 v58, v67, v52
	ds_bpermute_b32 v59, v67, v53
	;; [unrolled: 1-line block ×4, first 2 shown]
	v_cndmask_b32_e64 v53, -v53, v53, s[34:35]
	v_cndmask_b32_e64 v52, -v52, v52, s[34:35]
	;; [unrolled: 1-line block ×4, first 2 shown]
	s_waitcnt lgkmcnt(2)
	v_pk_add_f32 v[52:53], v[52:53], v[58:59]
	s_waitcnt lgkmcnt(0)
	v_pk_add_f32 v[54:55], v[54:55], v[56:57]
	ds_bpermute_b32 v58, v86, v52
	ds_bpermute_b32 v59, v86, v53
	;; [unrolled: 1-line block ×5, first 2 shown]
	v_cndmask_b32_e64 v53, -v53, v53, s[36:37]
	v_cndmask_b32_e64 v52, -v52, v52, s[36:37]
	;; [unrolled: 1-line block ×5, first 2 shown]
	s_waitcnt lgkmcnt(3)
	v_pk_add_f32 v[52:53], v[52:53], v[58:59]
	s_waitcnt lgkmcnt(2)
	v_add_f32_e32 v13, v13, v82
	s_waitcnt lgkmcnt(0)
	v_pk_add_f32 v[54:55], v[54:55], v[56:57]
	ds_bpermute_b32 v58, v88, v52
	ds_bpermute_b32 v59, v88, v53
	v_add_f32_e32 v100, v15, v14
	ds_bpermute_b32 v14, v86, v13
	ds_bpermute_b32 v56, v88, v54
	;; [unrolled: 1-line block ×3, first 2 shown]
	v_cndmask_b32_e64 v53, -v53, v53, s[38:39]
	v_cndmask_b32_e64 v52, -v52, v52, s[38:39]
	;; [unrolled: 1-line block ×5, first 2 shown]
	s_waitcnt lgkmcnt(3)
	v_pk_add_f32 v[52:53], v[52:53], v[58:59]
	s_waitcnt lgkmcnt(2)
	v_add_f32_e32 v13, v13, v14
	s_waitcnt lgkmcnt(0)
	v_pk_add_f32 v[54:55], v[54:55], v[56:57]
	ds_bpermute_b32 v58, v89, v52
	ds_bpermute_b32 v59, v89, v53
	;; [unrolled: 1-line block ×6, first 2 shown]
	v_cndmask_b32_e64 v53, -v53, v53, s[40:41]
	v_cndmask_b32_e64 v52, -v52, v52, s[40:41]
	;; [unrolled: 1-line block ×6, first 2 shown]
	s_waitcnt lgkmcnt(4)
	v_pk_add_f32 v[52:53], v[52:53], v[58:59]
	s_waitcnt lgkmcnt(3)
	v_add_f32_e32 v101, v15, v81
	ds_bpermute_b32 v15, v90, v78
	s_waitcnt lgkmcnt(3)
	v_add_f32_e32 v12, v12, v14
	v_cndmask_b32_e64 v14, -v78, v78, s[42:43]
	ds_bpermute_b32 v74, v65, v75
	v_cndmask_b32_e64 v78, -v75, v75, s[30:31]
	ds_bpermute_b32 v75, v65, v11
	s_waitcnt lgkmcnt(3)
	v_pk_add_f32 v[54:55], v[54:55], v[56:57]
	ds_bpermute_b32 v58, v90, v52
	ds_bpermute_b32 v59, v90, v53
	;; [unrolled: 1-line block ×4, first 2 shown]
	v_cndmask_b32_e64 v79, -v11, v11, s[30:31]
	v_cndmask_b32_e64 v53, -v53, v53, s[42:43]
	v_cndmask_b32_e64 v52, -v52, v52, s[42:43]
	v_cndmask_b32_e64 v61, -v55, v55, s[42:43]
	v_cndmask_b32_e64 v60, -v54, v54, s[42:43]
	s_waitcnt lgkmcnt(2)
	v_pk_add_f32 v[54:55], v[52:53], v[58:59]
	v_pk_add_f32 v[58:59], v[78:79], v[74:75]
	s_waitcnt lgkmcnt(0)
	v_pk_add_f32 v[52:53], v[60:61], v[56:57]
	ds_bpermute_b32 v60, v67, v58
	ds_bpermute_b32 v61, v67, v59
	v_cndmask_b32_e64 v59, -v59, v59, s[34:35]
	v_cndmask_b32_e64 v58, -v58, v58, s[34:35]
	ds_bpermute_b32 v13, v89, v12
	v_cndmask_b32_e64 v12, -v12, v12, s[40:41]
	s_waitcnt lgkmcnt(1)
	v_pk_add_f32 v[58:59], v[58:59], v[60:61]
	ds_bpermute_b32 v60, v86, v58
	ds_bpermute_b32 v61, v86, v59
	v_cndmask_b32_e64 v59, -v59, v59, s[36:37]
	v_cndmask_b32_e64 v58, -v58, v58, s[36:37]
	s_waitcnt lgkmcnt(2)
	v_add_f32_e32 v12, v12, v13
	ds_bpermute_b32 v13, v90, v12
	s_waitcnt lgkmcnt(1)
	v_pk_add_f32 v[58:59], v[58:59], v[60:61]
	ds_bpermute_b32 v60, v88, v58
	ds_bpermute_b32 v61, v88, v59
	v_cndmask_b32_e64 v59, -v59, v59, s[38:39]
	v_cndmask_b32_e64 v58, -v58, v58, s[38:39]
	ds_bpermute_b32 v80, v65, v1
	ds_bpermute_b32 v81, v65, v10
	s_waitcnt lgkmcnt(2)
	v_pk_add_f32 v[58:59], v[58:59], v[60:61]
	ds_bpermute_b32 v60, v89, v58
	ds_bpermute_b32 v61, v89, v59
	v_cndmask_b32_e64 v11, -v12, v12, s[42:43]
	ds_bpermute_b32 v21, v65, v25
	v_cndmask_b32_e64 v23, -v25, v25, s[30:31]
	ds_bpermute_b32 v25, v65, v27
	v_add_f32_e32 v103, v11, v13
	v_and_b32_e32 v11, 3, v0
	v_cndmask_b32_e64 v59, -v59, v59, s[40:41]
	v_cndmask_b32_e64 v58, -v58, v58, s[40:41]
	v_lshrrev_b32_e32 v0, 2, v0
	v_lshlrev_b32_e32 v12, 6, v11
	s_waitcnt lgkmcnt(2)
	v_pk_add_f32 v[58:59], v[58:59], v[60:61]
	v_bitop3_b32 v0, v12, v11, v0 bitop3:0x36
	v_cndmask_b32_e64 v82, -v1, v1, s[30:31]
	v_cndmask_b32_e64 v83, -v10, v10, s[30:31]
	ds_bpermute_b32 v60, v90, v58
	ds_bpermute_b32 v61, v90, v59
	v_lshl_add_u32 v87, v0, 4, 0
	v_pk_add_f32 v[56:57], v[82:83], v[80:81]
	v_cndmask_b32_e64 v27, -v27, v27, s[30:31]
	v_add_f32_e32 v102, v14, v15
	ds_write_b128 v69, v[2:5] offset:12288
	ds_write_b128 v69, v[6:9] offset:16384
	;; [unrolled: 1-line block ×5, first 2 shown]
	s_waitcnt lgkmcnt(0)
	s_barrier
	ds_read_b128 v[12:15], v87 offset:4096
	ds_read_b128 v[8:11], v87 offset:8192
	;; [unrolled: 1-line block ×3, first 2 shown]
	ds_bpermute_b32 v62, v67, v56
	ds_bpermute_b32 v63, v67, v57
	v_pk_add_f32 v[0:1], v[26:27], v[24:25]
	v_pk_add_f32 v[2:3], v[22:23], v[20:21]
	ds_bpermute_b32 v20, v67, v2
	ds_bpermute_b32 v21, v67, v3
	;; [unrolled: 1-line block ×4, first 2 shown]
	v_cndmask_b32_e64 v71, -v59, v59, s[42:43]
	v_cndmask_b32_e64 v70, -v58, v58, s[42:43]
	v_pk_add_f32 v[60:61], v[70:71], v[60:61]
	s_waitcnt lgkmcnt(8)
	ds_bpermute_b32 v70, v65, v13
	v_cndmask_b32_e64 v57, -v57, v57, s[34:35]
	v_cndmask_b32_e64 v56, -v56, v56, s[34:35]
	ds_bpermute_b32 v71, v65, v14
	s_waitcnt lgkmcnt(6)
	v_pk_add_f32 v[56:57], v[56:57], v[62:63]
	v_cndmask_b32_e64 v3, -v3, v3, s[34:35]
	v_cndmask_b32_e64 v2, -v2, v2, s[34:35]
	v_cndmask_b32_e64 v1, -v1, v1, s[34:35]
	v_cndmask_b32_e64 v0, -v0, v0, s[34:35]
	ds_bpermute_b32 v62, v86, v56
	ds_bpermute_b32 v63, v86, v57
	s_waitcnt lgkmcnt(4)
	v_pk_add_f32 v[0:1], v[0:1], v[22:23]
	v_pk_add_f32 v[2:3], v[2:3], v[20:21]
	v_cndmask_b32_e64 v13, -v13, v13, s[30:31]
	ds_bpermute_b32 v20, v86, v2
	ds_bpermute_b32 v21, v86, v3
	;; [unrolled: 1-line block ×4, first 2 shown]
	s_waitcnt lgkmcnt(7)
	v_add_f32_e32 v13, v13, v70
	ds_bpermute_b32 v70, v65, v15
	v_cndmask_b32_e64 v14, -v14, v14, s[30:31]
	s_waitcnt lgkmcnt(7)
	v_add_f32_e32 v14, v14, v71
	ds_bpermute_b32 v71, v65, v8
	ds_bpermute_b32 v41, v65, v29
	v_cndmask_b32_e64 v57, -v57, v57, s[36:37]
	v_cndmask_b32_e64 v56, -v56, v56, s[36:37]
	s_waitcnt lgkmcnt(7)
	v_pk_add_f32 v[56:57], v[56:57], v[62:63]
	v_cndmask_b32_e64 v3, -v3, v3, s[36:37]
	v_cndmask_b32_e64 v2, -v2, v2, s[36:37]
	;; [unrolled: 1-line block ×4, first 2 shown]
	ds_bpermute_b32 v62, v88, v56
	ds_bpermute_b32 v63, v88, v57
	v_cndmask_b32_e64 v15, -v15, v15, s[30:31]
	s_waitcnt lgkmcnt(5)
	v_pk_add_f32 v[0:1], v[0:1], v[22:23]
	v_pk_add_f32 v[2:3], v[2:3], v[20:21]
	s_waitcnt lgkmcnt(4)
	v_add_f32_e32 v15, v15, v70
	ds_bpermute_b32 v70, v65, v9
	v_cndmask_b32_e64 v8, -v8, v8, s[30:31]
	v_cndmask_b32_e64 v43, -v29, v29, s[30:31]
	ds_bpermute_b32 v20, v88, v2
	ds_bpermute_b32 v21, v88, v3
	;; [unrolled: 1-line block ×4, first 2 shown]
	s_waitcnt lgkmcnt(8)
	v_add_f32_e32 v8, v8, v71
	ds_bpermute_b32 v71, v65, v10
	s_waitcnt lgkmcnt(8)
	v_pk_add_f32 v[40:41], v[42:43], v[40:41]
	v_pk_add_f32 v[16:17], v[18:19], v[16:17]
	ds_bpermute_b32 v29, v65, v31
	ds_bpermute_b32 v18, v67, v16
	;; [unrolled: 1-line block ×5, first 2 shown]
	v_cndmask_b32_e64 v57, -v57, v57, s[38:39]
	v_cndmask_b32_e64 v56, -v56, v56, s[38:39]
	s_waitcnt lgkmcnt(11)
	v_pk_add_f32 v[56:57], v[56:57], v[62:63]
	v_cndmask_b32_e64 v9, -v9, v9, s[30:31]
	v_cndmask_b32_e64 v3, -v3, v3, s[38:39]
	;; [unrolled: 1-line block ×5, first 2 shown]
	ds_bpermute_b32 v62, v89, v56
	ds_bpermute_b32 v63, v89, v57
	s_waitcnt lgkmcnt(12)
	v_add_f32_e32 v9, v9, v70
	ds_bpermute_b32 v70, v65, v11
	v_cndmask_b32_e64 v10, -v10, v10, s[30:31]
	s_waitcnt lgkmcnt(9)
	v_pk_add_f32 v[0:1], v[0:1], v[22:23]
	v_pk_add_f32 v[2:3], v[2:3], v[20:21]
	s_waitcnt lgkmcnt(8)
	v_add_f32_e32 v10, v10, v71
	ds_bpermute_b32 v71, v65, v4
	v_cndmask_b32_e64 v31, -v31, v31, s[30:31]
	ds_bpermute_b32 v20, v89, v2
	ds_bpermute_b32 v21, v89, v3
	;; [unrolled: 1-line block ×4, first 2 shown]
	v_cndmask_b32_e64 v17, -v17, v17, s[34:35]
	v_cndmask_b32_e64 v16, -v16, v16, s[34:35]
	;; [unrolled: 1-line block ×4, first 2 shown]
	v_pk_add_f32 v[36:37], v[38:39], v[36:37]
	s_waitcnt lgkmcnt(8)
	v_pk_add_f32 v[40:41], v[40:41], v[42:43]
	v_pk_add_f32 v[16:17], v[16:17], v[18:19]
	v_pk_add_f32 v[28:29], v[30:31], v[28:29]
	ds_bpermute_b32 v38, v67, v36
	ds_bpermute_b32 v39, v67, v37
	ds_bpermute_b32 v18, v86, v16
	ds_bpermute_b32 v19, v86, v17
	ds_bpermute_b32 v42, v86, v40
	ds_bpermute_b32 v43, v86, v41
	ds_bpermute_b32 v30, v67, v28
	ds_bpermute_b32 v31, v67, v29
	v_cndmask_b32_e64 v57, -v57, v57, s[40:41]
	v_cndmask_b32_e64 v56, -v56, v56, s[40:41]
	;; [unrolled: 1-line block ×3, first 2 shown]
	s_waitcnt lgkmcnt(14)
	v_pk_add_f32 v[56:57], v[56:57], v[62:63]
	s_waitcnt lgkmcnt(13)
	v_add_f32_e32 v11, v11, v70
	ds_bpermute_b32 v70, v65, v5
	v_cndmask_b32_e64 v4, -v4, v4, s[30:31]
	v_cndmask_b32_e64 v3, -v3, v3, s[40:41]
	;; [unrolled: 1-line block ×5, first 2 shown]
	ds_bpermute_b32 v62, v90, v56
	ds_bpermute_b32 v63, v90, v57
	s_waitcnt lgkmcnt(14)
	v_add_f32_e32 v71, v4, v71
	ds_bpermute_b32 v4, v65, v6
	s_waitcnt lgkmcnt(12)
	v_pk_add_f32 v[0:1], v[0:1], v[22:23]
	v_pk_add_f32 v[2:3], v[2:3], v[20:21]
	ds_read_b128 v[24:27], v87 offset:16384
	ds_read_b128 v[20:23], v87 offset:20480
	v_cndmask_b32_e64 v37, -v37, v37, s[34:35]
	v_cndmask_b32_e64 v36, -v36, v36, s[34:35]
	;; [unrolled: 1-line block ×8, first 2 shown]
	s_waitcnt lgkmcnt(12)
	v_pk_add_f32 v[36:37], v[36:37], v[38:39]
	s_waitcnt lgkmcnt(8)
	v_pk_add_f32 v[40:41], v[40:41], v[42:43]
	v_pk_add_f32 v[16:17], v[16:17], v[18:19]
	s_waitcnt lgkmcnt(6)
	v_pk_add_f32 v[28:29], v[28:29], v[30:31]
	ds_bpermute_b32 v38, v86, v36
	ds_bpermute_b32 v39, v86, v37
	v_cndmask_b32_e64 v5, -v5, v5, s[30:31]
	ds_bpermute_b32 v18, v88, v16
	ds_bpermute_b32 v19, v88, v17
	;; [unrolled: 1-line block ×6, first 2 shown]
	v_cndmask_b32_e64 v73, -v57, v57, s[42:43]
	v_cndmask_b32_e64 v72, -v56, v56, s[42:43]
	s_waitcnt lgkmcnt(13)
	v_add_f32_e32 v70, v5, v70
	ds_bpermute_b32 v5, v65, v7
	v_cndmask_b32_e64 v6, -v6, v6, s[30:31]
	s_waitcnt lgkmcnt(12)
	v_pk_add_f32 v[62:63], v[72:73], v[62:63]
	s_waitcnt lgkmcnt(11)
	v_add_f32_e32 v72, v6, v4
	s_waitcnt lgkmcnt(10)
	ds_bpermute_b32 v4, v65, v24
	v_cndmask_b32_e64 v37, -v37, v37, s[36:37]
	v_cndmask_b32_e64 v36, -v36, v36, s[36:37]
	;; [unrolled: 1-line block ×8, first 2 shown]
	s_waitcnt lgkmcnt(8)
	v_pk_add_f32 v[36:37], v[36:37], v[38:39]
	v_cndmask_b32_e64 v6, -v7, v7, s[30:31]
	s_waitcnt lgkmcnt(4)
	v_pk_add_f32 v[40:41], v[40:41], v[42:43]
	v_pk_add_f32 v[16:17], v[16:17], v[18:19]
	s_waitcnt lgkmcnt(2)
	v_pk_add_f32 v[28:29], v[28:29], v[30:31]
	ds_bpermute_b32 v38, v88, v36
	ds_bpermute_b32 v39, v88, v37
	s_waitcnt lgkmcnt(3)
	v_add_f32_e32 v73, v6, v5
	ds_bpermute_b32 v5, v65, v25
	v_cndmask_b32_e64 v6, -v24, v24, s[30:31]
	ds_bpermute_b32 v18, v89, v16
	ds_bpermute_b32 v19, v89, v17
	;; [unrolled: 1-line block ×6, first 2 shown]
	s_waitcnt lgkmcnt(9)
	v_add_f32_e32 v24, v6, v4
	ds_bpermute_b32 v4, v65, v26
	v_cndmask_b32_e64 v37, -v37, v37, s[38:39]
	v_cndmask_b32_e64 v36, -v36, v36, s[38:39]
	;; [unrolled: 1-line block ×9, first 2 shown]
	s_waitcnt lgkmcnt(8)
	v_pk_add_f32 v[36:37], v[36:37], v[38:39]
	s_waitcnt lgkmcnt(7)
	v_add_f32_e32 v25, v6, v5
	ds_bpermute_b32 v5, v65, v27
	v_cndmask_b32_e64 v6, -v26, v26, s[30:31]
	s_waitcnt lgkmcnt(4)
	v_pk_add_f32 v[40:41], v[40:41], v[42:43]
	v_pk_add_f32 v[16:17], v[16:17], v[18:19]
	s_waitcnt lgkmcnt(2)
	v_pk_add_f32 v[28:29], v[28:29], v[30:31]
	ds_bpermute_b32 v38, v89, v36
	ds_bpermute_b32 v39, v89, v37
	;; [unrolled: 1-line block ×3, first 2 shown]
	s_waitcnt lgkmcnt(4)
	v_add_f32_e32 v26, v6, v4
	ds_bpermute_b32 v4, v65, v20
	ds_bpermute_b32 v94, v90, v0
	;; [unrolled: 1-line block ×9, first 2 shown]
	v_cndmask_b32_e64 v6, -v27, v27, s[30:31]
	v_cndmask_b32_e64 v37, -v37, v37, s[40:41]
	v_cndmask_b32_e64 v36, -v36, v36, s[40:41]
	v_cndmask_b32_e64 v12, -v12, v12, s[30:31]
	s_waitcnt lgkmcnt(12)
	v_add_f32_e32 v27, v6, v5
	ds_bpermute_b32 v5, v65, v21
	v_cndmask_b32_e64 v6, -v20, v20, s[30:31]
	v_cndmask_b32_e64 v1, -v1, v1, s[42:43]
	v_cndmask_b32_e64 v0, -v0, v0, s[42:43]
	v_cndmask_b32_e64 v17, -v17, v17, s[42:43]
	v_cndmask_b32_e64 v16, -v16, v16, s[42:43]
	v_cndmask_b32_e64 v41, -v41, v41, s[42:43]
	v_cndmask_b32_e64 v40, -v40, v40, s[42:43]
	v_cndmask_b32_e64 v29, -v29, v29, s[40:41]
	v_cndmask_b32_e64 v28, -v28, v28, s[40:41]
	s_waitcnt lgkmcnt(11)
	v_pk_add_f32 v[36:37], v[36:37], v[38:39]
	s_waitcnt lgkmcnt(10)
	v_add_f32_e32 v12, v12, v74
	s_waitcnt lgkmcnt(9)
	v_add_f32_e32 v74, v6, v4
	ds_bpermute_b32 v4, v65, v22
	ds_bpermute_b32 v92, v90, v2
	;; [unrolled: 1-line block ×3, first 2 shown]
	v_cndmask_b32_e64 v97, -v3, v3, s[42:43]
	v_cndmask_b32_e64 v96, -v2, v2, s[42:43]
	s_waitcnt lgkmcnt(10)
	v_pk_add_f32 v[2:3], v[0:1], v[94:95]
	s_waitcnt lgkmcnt(6)
	v_pk_add_f32 v[18:19], v[40:41], v[18:19]
	v_pk_add_f32 v[16:17], v[16:17], v[42:43]
	s_waitcnt lgkmcnt(4)
	v_pk_add_f32 v[28:29], v[28:29], v[30:31]
	ds_bpermute_b32 v30, v90, v36
	ds_bpermute_b32 v31, v90, v37
	v_cndmask_b32_e64 v95, -v37, v37, s[42:43]
	v_cndmask_b32_e64 v94, -v36, v36, s[42:43]
	ds_read_b128 v[40:43], v87 offset:24576
	ds_read_b128 v[36:39], v87 offset:28672
	v_cndmask_b32_e64 v6, -v21, v21, s[30:31]
	s_waitcnt lgkmcnt(7)
	v_add_f32_e32 v75, v6, v5
	ds_bpermute_b32 v5, v65, v23
	v_cndmask_b32_e64 v6, -v22, v22, s[30:31]
	s_waitcnt lgkmcnt(7)
	v_add_f32_e32 v76, v6, v4
	s_waitcnt lgkmcnt(2)
	ds_bpermute_b32 v4, v65, v40
	v_cndmask_b32_e64 v6, -v23, v23, s[30:31]
	s_waitcnt lgkmcnt(1)
	v_add_f32_e32 v77, v6, v5
	ds_bpermute_b32 v5, v65, v41
	v_cndmask_b32_e64 v6, -v40, v40, s[30:31]
	s_waitcnt lgkmcnt(1)
	v_add_f32_e32 v40, v6, v4
	ds_bpermute_b32 v4, v65, v42
	v_pk_add_f32 v[0:1], v[96:97], v[92:93]
	ds_bpermute_b32 v92, v90, v28
	ds_bpermute_b32 v93, v90, v29
	ds_read_b128 v[56:59], v87
	v_cndmask_b32_e64 v6, -v41, v41, s[30:31]
	s_waitcnt lgkmcnt(4)
	v_add_f32_e32 v41, v6, v5
	ds_bpermute_b32 v5, v65, v43
	v_cndmask_b32_e64 v6, -v42, v42, s[30:31]
	v_cndmask_b32_e64 v29, -v29, v29, s[42:43]
	;; [unrolled: 1-line block ×3, first 2 shown]
	s_waitcnt lgkmcnt(4)
	v_add_f32_e32 v42, v6, v4
	ds_bpermute_b32 v4, v65, v36
	v_pk_add_f32 v[30:31], v[94:95], v[30:31]
	s_waitcnt lgkmcnt(3)
	v_pk_add_f32 v[28:29], v[28:29], v[92:93]
	s_waitcnt lgkmcnt(0)
	s_barrier
	ds_write_b128 v69, v[0:3]
	ds_write_b128 v69, v[16:19] offset:4096
	ds_write_b128 v69, v[28:31] offset:8192
	;; [unrolled: 1-line block ×7, first 2 shown]
	ds_bpermute_b32 v0, v65, v56
	ds_bpermute_b32 v1, v65, v57
	;; [unrolled: 1-line block ×4, first 2 shown]
	v_cndmask_b32_e64 v6, -v43, v43, s[30:31]
	v_add_f32_e32 v43, v6, v5
	ds_bpermute_b32 v5, v65, v37
	v_cndmask_b32_e64 v6, -v36, v36, s[30:31]
	v_add_f32_e32 v78, v6, v4
	ds_bpermute_b32 v4, v65, v38
	v_cndmask_b32_e64 v17, -v57, v57, s[30:31]
	v_cndmask_b32_e64 v16, -v56, v56, s[30:31]
	;; [unrolled: 1-line block ×4, first 2 shown]
	s_waitcnt lgkmcnt(2)
	v_pk_add_f32 v[18:19], v[18:19], v[2:3]
	v_pk_add_f32 v[0:1], v[16:17], v[0:1]
	s_waitcnt lgkmcnt(0)
	s_barrier
	ds_bpermute_b32 v16, v67, v0
	ds_bpermute_b32 v17, v67, v1
	;; [unrolled: 1-line block ×4, first 2 shown]
	v_cndmask_b32_e64 v31, -v1, v1, s[34:35]
	v_cndmask_b32_e64 v30, -v0, v0, s[34:35]
	ds_read_b128 v[0:3], v87
	v_cndmask_b32_e64 v6, -v37, v37, s[30:31]
	v_add_f32_e32 v79, v6, v5
	ds_bpermute_b32 v5, v65, v39
	v_cndmask_b32_e64 v6, -v38, v38, s[30:31]
	v_add_f32_e32 v80, v6, v4
	ds_bpermute_b32 v4, v67, v12
	v_cndmask_b32_e64 v19, -v19, v19, s[34:35]
	v_cndmask_b32_e64 v18, -v18, v18, s[34:35]
	s_waitcnt lgkmcnt(3)
	v_pk_add_f32 v[18:19], v[18:19], v[28:29]
	v_pk_add_f32 v[16:17], v[30:31], v[16:17]
	ds_read_b128 v[28:31], v87 offset:4096
	s_waitcnt lgkmcnt(3)
	ds_bpermute_b32 v32, v65, v0
	ds_bpermute_b32 v33, v65, v1
	;; [unrolled: 1-line block ×4, first 2 shown]
	v_cndmask_b32_e64 v6, -v39, v39, s[30:31]
	s_waitcnt lgkmcnt(6)
	v_add_f32_e32 v81, v6, v5
	ds_bpermute_b32 v5, v67, v13
	v_cndmask_b32_e64 v6, -v12, v12, s[34:35]
	s_waitcnt lgkmcnt(6)
	v_add_f32_e32 v4, v6, v4
	ds_bpermute_b32 v6, v67, v14
	v_cndmask_b32_e64 v1, -v1, v1, s[30:31]
	v_cndmask_b32_e64 v0, -v0, v0, s[30:31]
	;; [unrolled: 1-line block ×4, first 2 shown]
	s_waitcnt lgkmcnt(2)
	v_pk_add_f32 v[2:3], v[2:3], v[34:35]
	v_pk_add_f32 v[0:1], v[0:1], v[32:33]
	v_cndmask_b32_e64 v7, -v13, v13, s[34:35]
	ds_bpermute_b32 v32, v67, v0
	ds_bpermute_b32 v33, v67, v1
	;; [unrolled: 1-line block ×4, first 2 shown]
	s_waitcnt lgkmcnt(5)
	v_add_f32_e32 v5, v7, v5
	ds_bpermute_b32 v7, v67, v15
	v_cndmask_b32_e64 v12, -v14, v14, s[34:35]
	s_waitcnt lgkmcnt(5)
	v_add_f32_e32 v6, v12, v6
	ds_bpermute_b32 v12, v67, v8
	v_cndmask_b32_e64 v1, -v1, v1, s[34:35]
	v_cndmask_b32_e64 v0, -v0, v0, s[34:35]
	;; [unrolled: 1-line block ×5, first 2 shown]
	s_waitcnt lgkmcnt(2)
	v_pk_add_f32 v[2:3], v[2:3], v[34:35]
	v_pk_add_f32 v[0:1], v[0:1], v[32:33]
	ds_bpermute_b32 v32, v65, v28
	ds_bpermute_b32 v33, v65, v29
	;; [unrolled: 1-line block ×4, first 2 shown]
	s_waitcnt lgkmcnt(5)
	v_add_f32_e32 v7, v13, v7
	ds_bpermute_b32 v13, v67, v9
	v_cndmask_b32_e64 v8, -v8, v8, s[34:35]
	s_waitcnt lgkmcnt(5)
	v_add_f32_e32 v8, v8, v12
	ds_bpermute_b32 v12, v67, v10
	v_cndmask_b32_e64 v29, -v29, v29, s[30:31]
	v_cndmask_b32_e64 v28, -v28, v28, s[30:31]
	v_cndmask_b32_e64 v31, -v31, v31, s[30:31]
	v_cndmask_b32_e64 v30, -v30, v30, s[30:31]
	v_cndmask_b32_e64 v9, -v9, v9, s[34:35]
	s_waitcnt lgkmcnt(2)
	v_pk_add_f32 v[30:31], v[30:31], v[34:35]
	v_pk_add_f32 v[28:29], v[28:29], v[32:33]
	s_waitcnt lgkmcnt(1)
	v_add_f32_e32 v9, v9, v13
	ds_bpermute_b32 v13, v67, v11
	v_cndmask_b32_e64 v10, -v10, v10, s[34:35]
	ds_bpermute_b32 v44, v67, v28
	ds_bpermute_b32 v45, v67, v29
	;; [unrolled: 1-line block ×4, first 2 shown]
	ds_read_b128 v[32:35], v87 offset:8192
	s_waitcnt lgkmcnt(6)
	v_add_f32_e32 v10, v10, v12
	ds_bpermute_b32 v12, v67, v71
	v_cndmask_b32_e64 v11, -v11, v11, s[34:35]
	v_cndmask_b32_e64 v29, -v29, v29, s[34:35]
	;; [unrolled: 1-line block ×5, first 2 shown]
	s_waitcnt lgkmcnt(6)
	v_add_f32_e32 v11, v11, v13
	ds_bpermute_b32 v13, v67, v70
	v_cndmask_b32_e64 v14, -v71, v71, s[34:35]
	s_waitcnt lgkmcnt(3)
	v_pk_add_f32 v[30:31], v[30:31], v[46:47]
	v_pk_add_f32 v[28:29], v[28:29], v[44:45]
	ds_read_b128 v[44:47], v87 offset:12288
	s_waitcnt lgkmcnt(3)
	ds_bpermute_b32 v48, v65, v32
	ds_bpermute_b32 v49, v65, v33
	ds_bpermute_b32 v50, v65, v34
	ds_bpermute_b32 v51, v65, v35
	s_waitcnt lgkmcnt(6)
	v_add_f32_e32 v12, v14, v12
	ds_bpermute_b32 v14, v67, v72
	v_cndmask_b32_e64 v15, -v70, v70, s[34:35]
	v_cndmask_b32_e64 v33, -v33, v33, s[30:31]
	;; [unrolled: 1-line block ×5, first 2 shown]
	s_waitcnt lgkmcnt(6)
	v_add_f32_e32 v13, v15, v13
	ds_bpermute_b32 v15, v67, v73
	v_cndmask_b32_e64 v20, -v72, v72, s[34:35]
	s_waitcnt lgkmcnt(2)
	v_pk_add_f32 v[34:35], v[34:35], v[50:51]
	v_pk_add_f32 v[32:33], v[32:33], v[48:49]
	s_waitcnt lgkmcnt(1)
	v_add_f32_e32 v14, v20, v14
	ds_bpermute_b32 v20, v67, v24
	ds_bpermute_b32 v48, v67, v32
	;; [unrolled: 1-line block ×5, first 2 shown]
	v_cndmask_b32_e64 v21, -v73, v73, s[34:35]
	s_waitcnt lgkmcnt(5)
	v_add_f32_e32 v15, v21, v15
	ds_bpermute_b32 v21, v67, v25
	v_cndmask_b32_e64 v22, -v24, v24, s[34:35]
	v_cndmask_b32_e64 v33, -v33, v33, s[34:35]
	;; [unrolled: 1-line block ×5, first 2 shown]
	s_waitcnt lgkmcnt(5)
	v_add_f32_e32 v20, v22, v20
	ds_bpermute_b32 v22, v67, v26
	s_waitcnt lgkmcnt(2)
	v_pk_add_f32 v[34:35], v[34:35], v[50:51]
	v_pk_add_f32 v[32:33], v[32:33], v[48:49]
	ds_bpermute_b32 v48, v65, v44
	ds_bpermute_b32 v49, v65, v45
	;; [unrolled: 1-line block ×4, first 2 shown]
	v_cndmask_b32_e64 v23, -v25, v25, s[34:35]
	s_waitcnt lgkmcnt(5)
	v_add_f32_e32 v21, v23, v21
	ds_bpermute_b32 v23, v67, v27
	v_cndmask_b32_e64 v24, -v26, v26, s[34:35]
	v_cndmask_b32_e64 v45, -v45, v45, s[30:31]
	;; [unrolled: 1-line block ×5, first 2 shown]
	s_waitcnt lgkmcnt(5)
	v_add_f32_e32 v22, v24, v22
	ds_bpermute_b32 v24, v67, v74
	s_waitcnt lgkmcnt(2)
	v_pk_add_f32 v[46:47], v[46:47], v[50:51]
	v_pk_add_f32 v[44:45], v[44:45], v[48:49]
	ds_bpermute_b32 v52, v67, v44
	ds_bpermute_b32 v53, v67, v45
	;; [unrolled: 1-line block ×4, first 2 shown]
	ds_read_b128 v[48:51], v87 offset:16384
	v_cndmask_b32_e64 v25, -v27, v27, s[34:35]
	s_waitcnt lgkmcnt(6)
	v_add_f32_e32 v23, v25, v23
	ds_bpermute_b32 v25, v67, v75
	v_cndmask_b32_e64 v26, -v74, v74, s[34:35]
	s_waitcnt lgkmcnt(6)
	v_add_f32_e32 v24, v26, v24
	ds_bpermute_b32 v26, v67, v76
	v_cndmask_b32_e64 v45, -v45, v45, s[34:35]
	v_cndmask_b32_e64 v44, -v44, v44, s[34:35]
	;; [unrolled: 1-line block ×4, first 2 shown]
	s_waitcnt lgkmcnt(3)
	v_pk_add_f32 v[46:47], v[46:47], v[54:55]
	v_pk_add_f32 v[44:45], v[44:45], v[52:53]
	ds_read_b128 v[52:55], v87 offset:20480
	s_waitcnt lgkmcnt(3)
	ds_bpermute_b32 v56, v65, v48
	ds_bpermute_b32 v57, v65, v49
	;; [unrolled: 1-line block ×4, first 2 shown]
	v_cndmask_b32_e64 v27, -v75, v75, s[34:35]
	s_waitcnt lgkmcnt(6)
	v_add_f32_e32 v25, v27, v25
	ds_bpermute_b32 v27, v67, v77
	v_cndmask_b32_e64 v36, -v76, v76, s[34:35]
	s_waitcnt lgkmcnt(6)
	v_add_f32_e32 v26, v36, v26
	ds_bpermute_b32 v36, v67, v40
	v_cndmask_b32_e64 v49, -v49, v49, s[30:31]
	v_cndmask_b32_e64 v48, -v48, v48, s[30:31]
	;; [unrolled: 1-line block ×4, first 2 shown]
	s_waitcnt lgkmcnt(2)
	v_pk_add_f32 v[50:51], v[50:51], v[58:59]
	v_pk_add_f32 v[48:49], v[48:49], v[56:57]
	ds_bpermute_b32 v56, v67, v48
	ds_bpermute_b32 v57, v67, v49
	;; [unrolled: 1-line block ×4, first 2 shown]
	v_cndmask_b32_e64 v37, -v77, v77, s[34:35]
	s_waitcnt lgkmcnt(5)
	v_add_f32_e32 v27, v37, v27
	ds_bpermute_b32 v37, v67, v41
	v_cndmask_b32_e64 v38, -v40, v40, s[34:35]
	s_waitcnt lgkmcnt(5)
	v_add_f32_e32 v36, v38, v36
	ds_bpermute_b32 v38, v67, v42
	v_cndmask_b32_e64 v49, -v49, v49, s[34:35]
	v_cndmask_b32_e64 v48, -v48, v48, s[34:35]
	;; [unrolled: 1-line block ×4, first 2 shown]
	s_waitcnt lgkmcnt(2)
	v_pk_add_f32 v[50:51], v[50:51], v[58:59]
	v_pk_add_f32 v[48:49], v[48:49], v[56:57]
	ds_bpermute_b32 v56, v65, v52
	ds_bpermute_b32 v57, v65, v53
	;; [unrolled: 1-line block ×4, first 2 shown]
	v_cndmask_b32_e64 v39, -v41, v41, s[34:35]
	s_waitcnt lgkmcnt(5)
	v_add_f32_e32 v37, v39, v37
	ds_bpermute_b32 v39, v67, v43
	v_cndmask_b32_e64 v40, -v42, v42, s[34:35]
	s_waitcnt lgkmcnt(5)
	v_add_f32_e32 v38, v40, v38
	ds_bpermute_b32 v40, v67, v78
	ds_bpermute_b32 v42, v67, v79
	v_cndmask_b32_e64 v53, -v53, v53, s[30:31]
	v_cndmask_b32_e64 v52, -v52, v52, s[30:31]
	;; [unrolled: 1-line block ×5, first 2 shown]
	ds_bpermute_b32 v43, v67, v80
	s_waitcnt lgkmcnt(4)
	v_pk_add_f32 v[58:59], v[54:55], v[58:59]
	v_pk_add_f32 v[52:53], v[52:53], v[56:57]
	ds_bpermute_b32 v70, v67, v81
	ds_bpermute_b32 v56, v67, v52
	;; [unrolled: 1-line block ×5, first 2 shown]
	v_cndmask_b32_e64 v63, -v53, v53, s[34:35]
	v_cndmask_b32_e64 v62, -v52, v52, s[34:35]
	ds_read_b128 v[52:55], v87 offset:24576
	s_waitcnt lgkmcnt(9)
	v_add_f32_e32 v39, v41, v39
	v_cndmask_b32_e64 v41, -v78, v78, s[34:35]
	s_waitcnt lgkmcnt(8)
	v_add_f32_e32 v40, v41, v40
	v_cndmask_b32_e64 v41, -v79, v79, s[34:35]
	;; [unrolled: 3-line block ×4, first 2 shown]
	v_cndmask_b32_e64 v59, -v59, v59, s[34:35]
	v_cndmask_b32_e64 v58, -v58, v58, s[34:35]
	s_waitcnt lgkmcnt(5)
	v_add_f32_e32 v43, v43, v70
	s_waitcnt lgkmcnt(1)
	v_pk_add_f32 v[58:59], v[58:59], v[60:61]
	v_pk_add_f32 v[56:57], v[62:63], v[56:57]
	ds_read_b128 v[60:63], v87 offset:28672
	s_waitcnt lgkmcnt(1)
	ds_bpermute_b32 v70, v65, v52
	ds_bpermute_b32 v71, v65, v53
	ds_bpermute_b32 v72, v65, v54
	ds_bpermute_b32 v73, v65, v55
	v_cndmask_b32_e64 v53, -v53, v53, s[30:31]
	v_cndmask_b32_e64 v52, -v52, v52, s[30:31]
	v_cndmask_b32_e64 v55, -v55, v55, s[30:31]
	v_cndmask_b32_e64 v54, -v54, v54, s[30:31]
	s_waitcnt lgkmcnt(0)
	v_pk_add_f32 v[54:55], v[54:55], v[72:73]
	v_pk_add_f32 v[52:53], v[52:53], v[70:71]
	ds_bpermute_b32 v70, v67, v52
	ds_bpermute_b32 v71, v67, v53
	ds_bpermute_b32 v72, v67, v54
	ds_bpermute_b32 v73, v67, v55
	v_cndmask_b32_e64 v53, -v53, v53, s[34:35]
	v_cndmask_b32_e64 v52, -v52, v52, s[34:35]
	v_cndmask_b32_e64 v55, -v55, v55, s[34:35]
	v_cndmask_b32_e64 v54, -v54, v54, s[34:35]
	s_waitcnt lgkmcnt(0)
	v_pk_add_f32 v[54:55], v[54:55], v[72:73]
	v_pk_add_f32 v[52:53], v[52:53], v[70:71]
	;; [unrolled: 11-line block ×4, first 2 shown]
	s_barrier
	ds_write_b128 v87, v[16:19]
	ds_write_b128 v87, v[4:7] offset:4096
	ds_write_b128 v87, v[8:11] offset:8192
	;; [unrolled: 1-line block ×7, first 2 shown]
	s_waitcnt lgkmcnt(0)
	s_barrier
	ds_read_b128 v[4:7], v69
	ds_read_b128 v[8:11], v69 offset:4096
	ds_read_b128 v[12:15], v69 offset:8192
	;; [unrolled: 1-line block ×7, first 2 shown]
	s_waitcnt lgkmcnt(0)
	s_barrier
	ds_write_b128 v87, v[0:3]
	ds_write_b128 v87, v[28:31] offset:4096
	ds_write_b128 v87, v[32:35] offset:8192
	ds_write_b128 v87, v[44:47] offset:12288
	ds_write_b128 v87, v[48:51] offset:16384
	ds_write_b128 v87, v[56:59] offset:20480
	ds_write_b128 v87, v[52:55] offset:24576
	ds_write_b128 v87, v[60:63] offset:28672
	s_waitcnt lgkmcnt(0)
	s_barrier
	ds_read_b128 v[0:3], v69
	ds_read_b128 v[28:31], v69 offset:4096
	ds_read_b128 v[32:35], v69 offset:8192
	;; [unrolled: 1-line block ×7, first 2 shown]
	s_mul_i32 s0, s54, s3
	s_mul_hi_u32 s1, s54, s2
	s_add_i32 s0, s1, s0
	s_mul_i32 s1, s55, s2
	s_add_i32 s1, s0, s1
	s_mul_i32 s0, s54, s2
	v_pk_add_f32 v[94:95], v[4:5], v[8:9]
	v_pk_add_f32 v[96:97], v[12:13], v[16:17]
	;; [unrolled: 1-line block ×4, first 2 shown]
	s_waitcnt lgkmcnt(6)
	v_pk_add_f32 v[102:103], v[0:1], v[28:29]
	s_waitcnt lgkmcnt(4)
	v_pk_add_f32 v[104:105], v[32:33], v[44:45]
	;; [unrolled: 2-line block ×4, first 2 shown]
	s_lshl_b64 s[0:1], s[0:1], 2
	v_pk_add_f32 v[110:111], v[6:7], v[10:11]
	v_pk_add_f32 v[112:113], v[14:15], v[18:19]
	v_pk_add_f32 v[114:115], v[22:23], v[26:27]
	v_pk_add_f32 v[116:117], v[38:39], v[42:43]
	v_pk_add_f32 v[118:119], v[2:3], v[30:31]
	v_pk_add_f32 v[120:121], v[34:35], v[46:47]
	v_pk_add_f32 v[122:123], v[50:51], v[54:55]
	v_pk_add_f32 v[124:125], v[58:59], v[62:63]
	v_pk_add_f32 v[78:79], v[94:95], v[96:97]
	v_pk_add_f32 v[80:81], v[98:99], v[100:101]
	v_pk_add_f32 v[82:83], v[102:103], v[104:105]
	v_pk_add_f32 v[84:85], v[106:107], v[108:109]
	s_add_u32 s0, s50, s0
	v_pk_add_f32 v[86:87], v[110:111], v[112:113]
	v_pk_add_f32 v[88:89], v[114:115], v[116:117]
	;; [unrolled: 1-line block ×6, first 2 shown]
	s_addc_u32 s1, s51, s1
	s_mov_b32 s49, s48
	v_pk_add_f32 v[74:75], v[86:87], v[88:89]
	v_pk_add_f32 v[76:77], v[90:91], v[92:93]
	s_and_saveexec_b64 s[2:3], s[6:7]
	s_cbranch_execz .LBB11_34
; %bb.33:
	v_pk_add_f32 v[128:129], v[72:73], v[70:71]
	v_pk_add_f32 v[130:131], v[76:77], v[74:75]
	v_pk_mul_f32 v[128:129], s[48:49], v[128:129]
	v_pk_mul_f32 v[130:131], s[48:49], v[130:131]
	global_store_dwordx4 v126, v[128:131], s[0:1]
.LBB11_34:
	s_or_b64 exec, exec, s[2:3]
	v_pk_add_f32 v[126:127], v[4:5], v[8:9] neg_lo:[0,1] neg_hi:[0,1]
	v_pk_add_f32 v[16:17], v[12:13], v[16:17] neg_lo:[0,1] neg_hi:[0,1]
	v_pk_add_f32 v[20:21], v[20:21], v[24:25] neg_lo:[0,1] neg_hi:[0,1]
	v_pk_add_f32 v[24:25], v[36:37], v[40:41] neg_lo:[0,1] neg_hi:[0,1]
	v_pk_add_f32 v[40:41], v[6:7], v[10:11] neg_lo:[0,1] neg_hi:[0,1]
	v_pk_add_f32 v[18:19], v[14:15], v[18:19] neg_lo:[0,1] neg_hi:[0,1]
	v_pk_add_f32 v[22:23], v[22:23], v[26:27] neg_lo:[0,1] neg_hi:[0,1]
	v_pk_add_f32 v[26:27], v[38:39], v[42:43] neg_lo:[0,1] neg_hi:[0,1]
	v_pk_add_f32 v[28:29], v[0:1], v[28:29] neg_lo:[0,1] neg_hi:[0,1]
	v_pk_add_f32 v[30:31], v[2:3], v[30:31] neg_lo:[0,1] neg_hi:[0,1]
	v_pk_add_f32 v[128:129], v[32:33], v[44:45] neg_lo:[0,1] neg_hi:[0,1]
	v_pk_add_f32 v[130:131], v[34:35], v[46:47] neg_lo:[0,1] neg_hi:[0,1]
	v_pk_add_f32 v[132:133], v[48:49], v[52:53] neg_lo:[0,1] neg_hi:[0,1]
	v_pk_add_f32 v[134:135], v[50:51], v[54:55] neg_lo:[0,1] neg_hi:[0,1]
	v_pk_add_f32 v[136:137], v[56:57], v[60:61] neg_lo:[0,1] neg_hi:[0,1]
	v_pk_add_f32 v[138:139], v[58:59], v[62:63] neg_lo:[0,1] neg_hi:[0,1]
	v_pk_add_f32 v[32:33], v[126:127], v[16:17]
	v_pk_add_f32 v[34:35], v[20:21], v[24:25]
	;; [unrolled: 1-line block ×12, first 2 shown]
	s_and_saveexec_b64 s[2:3], vcc
	s_cbranch_execz .LBB11_36
; %bb.35:
	v_pk_add_f32 v[8:9], v[2:3], v[0:1]
	v_pk_add_f32 v[10:11], v[6:7], v[4:5]
	v_pk_mul_f32 v[8:9], s[48:49], v[8:9]
	v_pk_mul_f32 v[10:11], s[48:49], v[10:11]
	global_store_dwordx4 v140, v[8:11], s[0:1]
.LBB11_36:
	s_or_b64 exec, exec, s[2:3]
	v_pk_add_f32 v[50:51], v[94:95], v[96:97] neg_lo:[0,1] neg_hi:[0,1]
	v_pk_add_f32 v[52:53], v[98:99], v[100:101] neg_lo:[0,1] neg_hi:[0,1]
	;; [unrolled: 1-line block ×8, first 2 shown]
	v_pk_add_f32 v[8:9], v[50:51], v[52:53]
	v_pk_add_f32 v[10:11], v[54:55], v[56:57]
	;; [unrolled: 1-line block ×4, first 2 shown]
	s_and_saveexec_b64 s[2:3], s[44:45]
	s_cbranch_execz .LBB11_38
; %bb.37:
	v_pk_add_f32 v[96:97], v[10:11], v[8:9]
	v_pk_add_f32 v[98:99], v[14:15], v[12:13]
	v_pk_mul_f32 v[96:97], s[48:49], v[96:97]
	v_pk_mul_f32 v[98:99], s[48:49], v[98:99]
	global_store_dwordx4 v142, v[96:99], s[0:1]
.LBB11_38:
	s_or_b64 exec, exec, s[2:3]
	s_nop 0
	v_pk_add_f32 v[96:97], v[126:127], v[16:17] neg_lo:[0,1] neg_hi:[0,1]
	v_pk_add_f32 v[98:99], v[20:21], v[24:25] neg_lo:[0,1] neg_hi:[0,1]
	;; [unrolled: 1-line block ×8, first 2 shown]
	v_pk_add_f32 v[16:17], v[96:97], v[98:99]
	v_pk_add_f32 v[18:19], v[104:105], v[108:109]
	;; [unrolled: 1-line block ×4, first 2 shown]
	s_and_saveexec_b64 s[2:3], s[46:47]
	s_cbranch_execz .LBB11_40
; %bb.39:
	v_pk_add_f32 v[24:25], v[18:19], v[16:17]
	v_pk_add_f32 v[26:27], v[22:23], v[20:21]
	v_pk_mul_f32 v[24:25], s[48:49], v[24:25]
	v_pk_mul_f32 v[26:27], s[48:49], v[26:27]
	global_store_dwordx4 v141, v[24:27], s[0:1]
.LBB11_40:
	s_or_b64 exec, exec, s[2:3]
	s_nop 0
	v_pk_add_f32 v[24:25], v[78:79], v[80:81] neg_lo:[0,1] neg_hi:[0,1]
	v_pk_add_f32 v[26:27], v[82:83], v[84:85] neg_lo:[0,1] neg_hi:[0,1]
	;; [unrolled: 1-line block ×4, first 2 shown]
	s_and_saveexec_b64 s[2:3], s[4:5]
	s_cbranch_execz .LBB11_42
; %bb.41:
	v_pk_add_f32 v[40:41], v[24:25], v[26:27]
	v_pk_add_f32 v[80:81], v[28:29], v[30:31]
	v_pk_mul_f32 v[78:79], s[48:49], v[40:41]
	v_pk_mul_f32 v[80:81], s[48:49], v[80:81]
	global_store_dwordx4 v143, v[78:81], s[0:1]
.LBB11_42:
	s_or_b64 exec, exec, s[2:3]
	v_pk_add_f32 v[32:33], v[32:33], v[34:35] neg_lo:[0,1] neg_hi:[0,1]
	v_pk_add_f32 v[40:41], v[36:37], v[38:39] neg_lo:[0,1] neg_hi:[0,1]
	;; [unrolled: 1-line block ×4, first 2 shown]
	s_and_saveexec_b64 s[2:3], s[8:9]
	s_cbranch_execz .LBB11_44
; %bb.43:
	v_pk_add_f32 v[34:35], v[32:33], v[40:41]
	v_pk_add_f32 v[36:37], v[42:43], v[48:49]
	v_pk_mul_f32 v[34:35], s[48:49], v[34:35]
	v_pk_mul_f32 v[36:37], s[48:49], v[36:37]
	global_store_dwordx4 v144, v[34:37], s[0:1]
.LBB11_44:
	s_or_b64 exec, exec, s[2:3]
	s_nop 0
	v_pk_add_f32 v[34:35], v[50:51], v[52:53] neg_lo:[0,1] neg_hi:[0,1]
	v_pk_add_f32 v[44:45], v[54:55], v[56:57] neg_lo:[0,1] neg_hi:[0,1]
	;; [unrolled: 1-line block ×4, first 2 shown]
	s_and_saveexec_b64 s[2:3], s[10:11]
	s_cbranch_execz .LBB11_46
; %bb.45:
	v_pk_add_f32 v[36:37], v[34:35], v[44:45]
	v_pk_add_f32 v[38:39], v[46:47], v[50:51]
	v_pk_mul_f32 v[36:37], s[48:49], v[36:37]
	v_pk_mul_f32 v[38:39], s[48:49], v[38:39]
	global_store_dwordx4 v145, v[36:39], s[0:1]
.LBB11_46:
	s_or_b64 exec, exec, s[2:3]
	s_nop 0
	v_pk_add_f32 v[36:37], v[96:97], v[98:99] neg_lo:[0,1] neg_hi:[0,1]
	v_pk_add_f32 v[38:39], v[100:101], v[102:103] neg_lo:[0,1] neg_hi:[0,1]
	;; [unrolled: 1-line block ×4, first 2 shown]
	s_and_saveexec_b64 s[2:3], s[12:13]
	s_cbranch_execnz .LBB11_56
; %bb.47:
	s_or_b64 exec, exec, s[2:3]
	s_and_saveexec_b64 s[2:3], s[14:15]
	s_cbranch_execnz .LBB11_57
.LBB11_48:
	s_or_b64 exec, exec, s[2:3]
	s_and_saveexec_b64 s[2:3], s[16:17]
	s_cbranch_execnz .LBB11_58
.LBB11_49:
	s_or_b64 exec, exec, s[2:3]
	s_and_saveexec_b64 s[2:3], s[18:19]
	s_cbranch_execnz .LBB11_59
.LBB11_50:
	s_or_b64 exec, exec, s[2:3]
	s_and_saveexec_b64 s[2:3], s[20:21]
	s_cbranch_execnz .LBB11_60
.LBB11_51:
	s_or_b64 exec, exec, s[2:3]
	s_and_saveexec_b64 s[2:3], s[22:23]
	s_cbranch_execnz .LBB11_61
.LBB11_52:
	s_or_b64 exec, exec, s[2:3]
	s_and_saveexec_b64 s[2:3], s[24:25]
	s_cbranch_execnz .LBB11_62
.LBB11_53:
	s_or_b64 exec, exec, s[2:3]
	s_and_saveexec_b64 s[2:3], s[26:27]
	s_cbranch_execnz .LBB11_63
.LBB11_54:
	s_or_b64 exec, exec, s[2:3]
	s_and_saveexec_b64 s[2:3], s[28:29]
	s_cbranch_execnz .LBB11_64
.LBB11_55:
	s_endpgm
.LBB11_56:
	v_pk_add_f32 v[56:57], v[36:37], v[52:53]
	v_pk_add_f32 v[58:59], v[38:39], v[54:55]
	v_pk_mul_f32 v[56:57], s[48:49], v[56:57]
	v_pk_mul_f32 v[58:59], s[48:49], v[58:59]
	global_store_dwordx4 v146, v[56:59], s[0:1]
	s_or_b64 exec, exec, s[2:3]
	s_and_saveexec_b64 s[2:3], s[14:15]
	s_cbranch_execz .LBB11_48
.LBB11_57:
	v_pk_add_f32 v[56:57], v[70:71], v[72:73] neg_lo:[0,1] neg_hi:[0,1]
	v_pk_add_f32 v[58:59], v[74:75], v[76:77] neg_lo:[0,1] neg_hi:[0,1]
	v_pk_mul_f32 v[56:57], s[48:49], v[56:57]
	v_pk_mul_f32 v[58:59], s[48:49], v[58:59]
	global_store_dwordx4 v147, v[56:59], s[0:1]
	s_or_b64 exec, exec, s[2:3]
	s_and_saveexec_b64 s[2:3], s[16:17]
	s_cbranch_execz .LBB11_49
.LBB11_58:
	v_pk_add_f32 v[0:1], v[0:1], v[2:3] neg_lo:[0,1] neg_hi:[0,1]
	v_pk_add_f32 v[2:3], v[4:5], v[6:7] neg_lo:[0,1] neg_hi:[0,1]
	v_pk_mul_f32 v[0:1], s[48:49], v[0:1]
	v_pk_mul_f32 v[2:3], s[48:49], v[2:3]
	global_store_dwordx4 v148, v[0:3], s[0:1]
	s_or_b64 exec, exec, s[2:3]
	s_and_saveexec_b64 s[2:3], s[18:19]
	s_cbranch_execz .LBB11_50
.LBB11_59:
	v_pk_add_f32 v[0:1], v[8:9], v[10:11] neg_lo:[0,1] neg_hi:[0,1]
	v_pk_add_f32 v[2:3], v[12:13], v[14:15] neg_lo:[0,1] neg_hi:[0,1]
	v_pk_mul_f32 v[0:1], s[48:49], v[0:1]
	v_pk_mul_f32 v[2:3], s[48:49], v[2:3]
	global_store_dwordx4 v149, v[0:3], s[0:1]
	s_or_b64 exec, exec, s[2:3]
	s_and_saveexec_b64 s[2:3], s[20:21]
	s_cbranch_execz .LBB11_51
.LBB11_60:
	v_pk_add_f32 v[0:1], v[16:17], v[18:19] neg_lo:[0,1] neg_hi:[0,1]
	v_pk_add_f32 v[2:3], v[20:21], v[22:23] neg_lo:[0,1] neg_hi:[0,1]
	v_pk_mul_f32 v[0:1], s[48:49], v[0:1]
	v_pk_mul_f32 v[2:3], s[48:49], v[2:3]
	global_store_dwordx4 v150, v[0:3], s[0:1]
	s_or_b64 exec, exec, s[2:3]
	s_and_saveexec_b64 s[2:3], s[22:23]
	s_cbranch_execz .LBB11_52
.LBB11_61:
	v_pk_add_f32 v[0:1], v[24:25], v[26:27] neg_lo:[0,1] neg_hi:[0,1]
	v_pk_add_f32 v[2:3], v[28:29], v[30:31] neg_lo:[0,1] neg_hi:[0,1]
	v_pk_mul_f32 v[0:1], s[48:49], v[0:1]
	v_pk_mul_f32 v[2:3], s[48:49], v[2:3]
	global_store_dwordx4 v151, v[0:3], s[0:1]
	s_or_b64 exec, exec, s[2:3]
	s_and_saveexec_b64 s[2:3], s[24:25]
	s_cbranch_execz .LBB11_53
.LBB11_62:
	v_pk_add_f32 v[0:1], v[32:33], v[40:41] neg_lo:[0,1] neg_hi:[0,1]
	v_pk_add_f32 v[2:3], v[42:43], v[48:49] neg_lo:[0,1] neg_hi:[0,1]
	v_mov_b32_e32 v65, 0
	v_pk_mul_f32 v[0:1], s[48:49], v[0:1]
	v_pk_mul_f32 v[2:3], s[48:49], v[2:3]
	v_lshl_add_u64 v[4:5], v[64:65], 4, s[0:1]
	global_store_dwordx4 v[4:5], v[0:3], off
	s_or_b64 exec, exec, s[2:3]
	s_and_saveexec_b64 s[2:3], s[26:27]
	s_cbranch_execz .LBB11_54
.LBB11_63:
	v_pk_add_f32 v[0:1], v[34:35], v[44:45] neg_lo:[0,1] neg_hi:[0,1]
	v_pk_add_f32 v[2:3], v[46:47], v[50:51] neg_lo:[0,1] neg_hi:[0,1]
	v_mov_b32_e32 v67, 0
	v_pk_mul_f32 v[0:1], s[48:49], v[0:1]
	v_pk_mul_f32 v[2:3], s[48:49], v[2:3]
	v_lshl_add_u64 v[4:5], v[66:67], 4, s[0:1]
	global_store_dwordx4 v[4:5], v[0:3], off
	s_or_b64 exec, exec, s[2:3]
	s_and_saveexec_b64 s[2:3], s[28:29]
	s_cbranch_execz .LBB11_55
.LBB11_64:
	v_pk_add_f32 v[0:1], v[36:37], v[52:53] neg_lo:[0,1] neg_hi:[0,1]
	v_pk_add_f32 v[2:3], v[38:39], v[54:55] neg_lo:[0,1] neg_hi:[0,1]
	v_mov_b32_e32 v69, 0
	v_pk_mul_f32 v[0:1], s[48:49], v[0:1]
	v_pk_mul_f32 v[2:3], s[48:49], v[2:3]
	v_lshl_add_u64 v[4:5], v[68:69], 4, s[0:1]
	global_store_dwordx4 v[4:5], v[0:3], off
	s_endpgm
	.section	.rodata,"a",@progbits
	.p2align	6, 0x0
	.amdhsa_kernel _Z30fast_hadamard_transform_kernelI37fast_hadamard_transform_kernel_traitsILi256ELi14EfEEv18HadamardParamsBase
		.amdhsa_group_segment_fixed_size 0
		.amdhsa_private_segment_fixed_size 0
		.amdhsa_kernarg_size 312
		.amdhsa_user_sgpr_count 2
		.amdhsa_user_sgpr_dispatch_ptr 0
		.amdhsa_user_sgpr_queue_ptr 0
		.amdhsa_user_sgpr_kernarg_segment_ptr 1
		.amdhsa_user_sgpr_dispatch_id 0
		.amdhsa_user_sgpr_kernarg_preload_length 0
		.amdhsa_user_sgpr_kernarg_preload_offset 0
		.amdhsa_user_sgpr_private_segment_size 0
		.amdhsa_uses_dynamic_stack 0
		.amdhsa_enable_private_segment 0
		.amdhsa_system_sgpr_workgroup_id_x 1
		.amdhsa_system_sgpr_workgroup_id_y 0
		.amdhsa_system_sgpr_workgroup_id_z 0
		.amdhsa_system_sgpr_workgroup_info 0
		.amdhsa_system_vgpr_workitem_id 0
		.amdhsa_next_free_vgpr 152
		.amdhsa_next_free_sgpr 56
		.amdhsa_accum_offset 152
		.amdhsa_reserve_vcc 1
		.amdhsa_float_round_mode_32 0
		.amdhsa_float_round_mode_16_64 0
		.amdhsa_float_denorm_mode_32 3
		.amdhsa_float_denorm_mode_16_64 3
		.amdhsa_dx10_clamp 1
		.amdhsa_ieee_mode 1
		.amdhsa_fp16_overflow 0
		.amdhsa_tg_split 0
		.amdhsa_exception_fp_ieee_invalid_op 0
		.amdhsa_exception_fp_denorm_src 0
		.amdhsa_exception_fp_ieee_div_zero 0
		.amdhsa_exception_fp_ieee_overflow 0
		.amdhsa_exception_fp_ieee_underflow 0
		.amdhsa_exception_fp_ieee_inexact 0
		.amdhsa_exception_int_div_zero 0
	.end_amdhsa_kernel
	.section	.text._Z30fast_hadamard_transform_kernelI37fast_hadamard_transform_kernel_traitsILi256ELi14EfEEv18HadamardParamsBase,"axG",@progbits,_Z30fast_hadamard_transform_kernelI37fast_hadamard_transform_kernel_traitsILi256ELi14EfEEv18HadamardParamsBase,comdat
.Lfunc_end11:
	.size	_Z30fast_hadamard_transform_kernelI37fast_hadamard_transform_kernel_traitsILi256ELi14EfEEv18HadamardParamsBase, .Lfunc_end11-_Z30fast_hadamard_transform_kernelI37fast_hadamard_transform_kernel_traitsILi256ELi14EfEEv18HadamardParamsBase
                                        ; -- End function
	.set _Z30fast_hadamard_transform_kernelI37fast_hadamard_transform_kernel_traitsILi256ELi14EfEEv18HadamardParamsBase.num_vgpr, 152
	.set _Z30fast_hadamard_transform_kernelI37fast_hadamard_transform_kernel_traitsILi256ELi14EfEEv18HadamardParamsBase.num_agpr, 0
	.set _Z30fast_hadamard_transform_kernelI37fast_hadamard_transform_kernel_traitsILi256ELi14EfEEv18HadamardParamsBase.numbered_sgpr, 56
	.set _Z30fast_hadamard_transform_kernelI37fast_hadamard_transform_kernel_traitsILi256ELi14EfEEv18HadamardParamsBase.num_named_barrier, 0
	.set _Z30fast_hadamard_transform_kernelI37fast_hadamard_transform_kernel_traitsILi256ELi14EfEEv18HadamardParamsBase.private_seg_size, 0
	.set _Z30fast_hadamard_transform_kernelI37fast_hadamard_transform_kernel_traitsILi256ELi14EfEEv18HadamardParamsBase.uses_vcc, 1
	.set _Z30fast_hadamard_transform_kernelI37fast_hadamard_transform_kernel_traitsILi256ELi14EfEEv18HadamardParamsBase.uses_flat_scratch, 0
	.set _Z30fast_hadamard_transform_kernelI37fast_hadamard_transform_kernel_traitsILi256ELi14EfEEv18HadamardParamsBase.has_dyn_sized_stack, 0
	.set _Z30fast_hadamard_transform_kernelI37fast_hadamard_transform_kernel_traitsILi256ELi14EfEEv18HadamardParamsBase.has_recursion, 0
	.set _Z30fast_hadamard_transform_kernelI37fast_hadamard_transform_kernel_traitsILi256ELi14EfEEv18HadamardParamsBase.has_indirect_call, 0
	.section	.AMDGPU.csdata,"",@progbits
; Kernel info:
; codeLenInByte = 15784
; TotalNumSgprs: 62
; NumVgprs: 152
; NumAgprs: 0
; TotalNumVgprs: 152
; ScratchSize: 0
; MemoryBound: 0
; FloatMode: 240
; IeeeMode: 1
; LDSByteSize: 0 bytes/workgroup (compile time only)
; SGPRBlocks: 7
; VGPRBlocks: 18
; NumSGPRsForWavesPerEU: 62
; NumVGPRsForWavesPerEU: 152
; AccumOffset: 152
; Occupancy: 3
; WaveLimiterHint : 0
; COMPUTE_PGM_RSRC2:SCRATCH_EN: 0
; COMPUTE_PGM_RSRC2:USER_SGPR: 2
; COMPUTE_PGM_RSRC2:TRAP_HANDLER: 0
; COMPUTE_PGM_RSRC2:TGID_X_EN: 1
; COMPUTE_PGM_RSRC2:TGID_Y_EN: 0
; COMPUTE_PGM_RSRC2:TGID_Z_EN: 0
; COMPUTE_PGM_RSRC2:TIDIG_COMP_CNT: 0
; COMPUTE_PGM_RSRC3_GFX90A:ACCUM_OFFSET: 37
; COMPUTE_PGM_RSRC3_GFX90A:TG_SPLIT: 0
	.section	.text._Z30fast_hadamard_transform_kernelI37fast_hadamard_transform_kernel_traitsILi256ELi15EfEEv18HadamardParamsBase,"axG",@progbits,_Z30fast_hadamard_transform_kernelI37fast_hadamard_transform_kernel_traitsILi256ELi15EfEEv18HadamardParamsBase,comdat
	.protected	_Z30fast_hadamard_transform_kernelI37fast_hadamard_transform_kernel_traitsILi256ELi15EfEEv18HadamardParamsBase ; -- Begin function _Z30fast_hadamard_transform_kernelI37fast_hadamard_transform_kernel_traitsILi256ELi15EfEEv18HadamardParamsBase
	.globl	_Z30fast_hadamard_transform_kernelI37fast_hadamard_transform_kernel_traitsILi256ELi15EfEEv18HadamardParamsBase
	.p2align	8
	.type	_Z30fast_hadamard_transform_kernelI37fast_hadamard_transform_kernel_traitsILi256ELi15EfEEv18HadamardParamsBase,@function
_Z30fast_hadamard_transform_kernelI37fast_hadamard_transform_kernel_traitsILi256ELi15EfEEv18HadamardParamsBase: ; @_Z30fast_hadamard_transform_kernelI37fast_hadamard_transform_kernel_traitsILi256ELi15EfEEv18HadamardParamsBase
; %bb.0:
	s_load_dwordx4 s[76:79], s[0:1], 0x10
	s_load_dword s33, s[0:1], 0x4
	s_load_dwordx4 s[72:75], s[0:1], 0x28
	s_ashr_i32 s3, s2, 31
	s_load_dword s6, s[0:1], 0x44
	s_waitcnt lgkmcnt(0)
	s_mul_hi_u32 s4, s76, s2
	s_mul_i32 s5, s76, s3
	s_add_i32 s4, s4, s5
	s_mul_i32 s5, s77, s2
	s_add_i32 s5, s4, s5
	s_mul_i32 s4, s76, s2
	s_lshl_b64 s[4:5], s[4:5], 2
	s_add_u32 s64, s72, s4
	v_lshlrev_b32_e32 v1, 2, v0
	s_addc_u32 s65, s73, s5
	v_cmp_gt_u32_e64 s[28:29], s33, v1
	v_mov_b32_e32 v2, 0
	v_lshlrev_b32_e32 v170, 4, v0
	v_mov_b32_e32 v6, 0
	v_mov_b32_e32 v7, 0
	;; [unrolled: 1-line block ×4, first 2 shown]
	s_and_saveexec_b64 s[4:5], s[28:29]
	s_cbranch_execz .LBB12_2
; %bb.1:
	global_load_dwordx4 v[6:9], v170, s[64:65]
.LBB12_2:
	s_or_b64 exec, exec, s[4:5]
	s_and_b32 s66, 0xffff, s6
	v_add_u32_e32 v1, s66, v0
	v_lshlrev_b32_e32 v3, 2, v1
	v_cmp_gt_u32_e64 s[16:17], s33, v3
	v_lshlrev_b32_e32 v3, 4, v1
	v_accvgpr_write_b32 a9, v3
	v_mov_b32_e32 v3, 0
	v_mov_b32_e32 v4, 0
	;; [unrolled: 1-line block ×3, first 2 shown]
	s_and_saveexec_b64 s[4:5], s[16:17]
	s_cbranch_execz .LBB12_4
; %bb.3:
	v_accvgpr_read_b32 v2, a9
	global_load_dwordx4 v[2:5], v2, s[64:65]
.LBB12_4:
	s_or_b64 exec, exec, s[4:5]
	v_add_u32_e32 v1, s66, v1
	v_lshlrev_b32_e32 v10, 2, v1
	v_lshlrev_b32_e32 v11, 4, v1
	v_cmp_gt_u32_e64 s[10:11], s33, v10
	v_mov_b32_e32 v10, 0
	v_accvgpr_write_b32 a6, v11
	v_mov_b32_e32 v14, 0
	v_mov_b32_e32 v15, 0
	;; [unrolled: 1-line block ×4, first 2 shown]
	s_and_saveexec_b64 s[4:5], s[10:11]
	s_cbranch_execz .LBB12_6
; %bb.5:
	v_accvgpr_read_b32 v11, a6
	global_load_dwordx4 v[14:17], v11, s[64:65]
.LBB12_6:
	s_or_b64 exec, exec, s[4:5]
	v_add_u32_e32 v1, s66, v1
	v_lshlrev_b32_e32 v11, 2, v1
	v_cmp_gt_u32_e32 vcc, s33, v11
	v_lshlrev_b32_e32 v11, 4, v1
	v_accvgpr_write_b32 a0, v11
	v_mov_b32_e32 v11, 0
	v_mov_b32_e32 v12, 0
	;; [unrolled: 1-line block ×3, first 2 shown]
	s_and_saveexec_b64 s[4:5], vcc
	s_cbranch_execz .LBB12_8
; %bb.7:
	v_accvgpr_read_b32 v10, a0
	global_load_dwordx4 v[10:13], v10, s[64:65]
.LBB12_8:
	s_or_b64 exec, exec, s[4:5]
	v_add_u32_e32 v1, s66, v1
	v_lshlrev_b32_e32 v18, 2, v1
	v_lshlrev_b32_e32 v19, 4, v1
	v_cmp_gt_u32_e64 s[68:69], s33, v18
	v_mov_b32_e32 v18, 0
	v_accvgpr_write_b32 a2, v19
	v_mov_b32_e32 v22, 0
	v_mov_b32_e32 v23, 0
	v_mov_b32_e32 v24, 0
	v_mov_b32_e32 v25, 0
	s_and_saveexec_b64 s[4:5], s[68:69]
	s_cbranch_execz .LBB12_10
; %bb.9:
	v_accvgpr_read_b32 v19, a2
	global_load_dwordx4 v[22:25], v19, s[64:65]
.LBB12_10:
	s_or_b64 exec, exec, s[4:5]
	v_add_u32_e32 v1, s66, v1
	v_lshlrev_b32_e32 v19, 2, v1
	v_cmp_gt_u32_e64 s[70:71], s33, v19
	v_lshlrev_b32_e32 v19, 4, v1
	v_accvgpr_write_b32 a1, v19
	v_mov_b32_e32 v19, 0
	v_mov_b32_e32 v20, 0
	v_mov_b32_e32 v21, 0
	s_and_saveexec_b64 s[4:5], s[70:71]
	s_cbranch_execz .LBB12_12
; %bb.11:
	v_accvgpr_read_b32 v18, a1
	global_load_dwordx4 v[18:21], v18, s[64:65]
.LBB12_12:
	s_or_b64 exec, exec, s[4:5]
	v_add_u32_e32 v1, s66, v1
	v_lshlrev_b32_e32 v26, 2, v1
	v_lshlrev_b32_e32 v27, 4, v1
	v_cmp_gt_u32_e64 s[4:5], s33, v26
	v_mov_b32_e32 v26, 0
	v_accvgpr_write_b32 a4, v27
	v_mov_b32_e32 v30, 0
	v_mov_b32_e32 v31, 0
	v_mov_b32_e32 v32, 0
	v_mov_b32_e32 v33, 0
	s_and_saveexec_b64 s[6:7], s[4:5]
	s_cbranch_execz .LBB12_14
; %bb.13:
	v_accvgpr_read_b32 v27, a4
	global_load_dwordx4 v[30:33], v27, s[64:65]
.LBB12_14:
	s_or_b64 exec, exec, s[6:7]
	v_add_u32_e32 v1, s66, v1
	v_lshlrev_b32_e32 v27, 2, v1
	v_cmp_gt_u32_e64 s[6:7], s33, v27
	v_lshlrev_b32_e32 v27, 4, v1
	v_accvgpr_write_b32 a3, v27
	v_mov_b32_e32 v27, 0
	v_mov_b32_e32 v28, 0
	v_mov_b32_e32 v29, 0
	s_and_saveexec_b64 s[8:9], s[6:7]
	s_cbranch_execz .LBB12_16
; %bb.15:
	v_accvgpr_read_b32 v26, a3
	global_load_dwordx4 v[26:29], v26, s[64:65]
.LBB12_16:
	s_or_b64 exec, exec, s[8:9]
	v_add_u32_e32 v1, s66, v1
	v_lshlrev_b32_e32 v34, 2, v1
	v_lshlrev_b32_e32 v35, 4, v1
	v_cmp_gt_u32_e64 s[8:9], s33, v34
	v_mov_b32_e32 v34, 0
	v_accvgpr_write_b32 a5, v35
	v_mov_b32_e32 v38, 0
	v_mov_b32_e32 v39, 0
	v_mov_b32_e32 v40, 0
	v_mov_b32_e32 v41, 0
	s_and_saveexec_b64 s[12:13], s[8:9]
	s_cbranch_execz .LBB12_18
; %bb.17:
	v_accvgpr_read_b32 v35, a5
	global_load_dwordx4 v[38:41], v35, s[64:65]
.LBB12_18:
	s_or_b64 exec, exec, s[12:13]
	v_add_u32_e32 v1, s66, v1
	v_lshlrev_b32_e32 v35, 2, v1
	v_cmp_gt_u32_e64 s[12:13], s33, v35
	v_lshlrev_b32_e32 v35, 4, v1
	v_accvgpr_write_b32 a7, v35
	v_mov_b32_e32 v35, 0
	v_mov_b32_e32 v36, 0
	v_mov_b32_e32 v37, 0
	s_and_saveexec_b64 s[14:15], s[12:13]
	s_cbranch_execz .LBB12_20
; %bb.19:
	v_accvgpr_read_b32 v34, a7
	global_load_dwordx4 v[34:37], v34, s[64:65]
.LBB12_20:
	s_or_b64 exec, exec, s[14:15]
	v_add_u32_e32 v1, s66, v1
	v_lshlrev_b32_e32 v42, 2, v1
	v_lshlrev_b32_e32 v43, 4, v1
	v_cmp_gt_u32_e64 s[14:15], s33, v42
	v_mov_b32_e32 v42, 0
	v_accvgpr_write_b32 a8, v43
	v_mov_b32_e32 v46, 0
	v_mov_b32_e32 v47, 0
	v_mov_b32_e32 v48, 0
	v_mov_b32_e32 v49, 0
	s_and_saveexec_b64 s[18:19], s[14:15]
	s_cbranch_execz .LBB12_22
; %bb.21:
	v_accvgpr_read_b32 v43, a8
	global_load_dwordx4 v[46:49], v43, s[64:65]
.LBB12_22:
	s_or_b64 exec, exec, s[18:19]
	v_add_u32_e32 v1, s66, v1
	v_lshlrev_b32_e32 v43, 2, v1
	v_cmp_gt_u32_e64 s[18:19], s33, v43
	v_lshlrev_b32_e32 v43, 4, v1
	v_accvgpr_write_b32 a10, v43
	v_mov_b32_e32 v43, 0
	v_mov_b32_e32 v44, 0
	v_mov_b32_e32 v45, 0
	s_and_saveexec_b64 s[20:21], s[18:19]
	s_cbranch_execz .LBB12_24
; %bb.23:
	v_accvgpr_read_b32 v42, a10
	global_load_dwordx4 v[42:45], v42, s[64:65]
.LBB12_24:
	s_or_b64 exec, exec, s[20:21]
	v_add_u32_e32 v1, s66, v1
	v_lshlrev_b32_e32 v50, 2, v1
	v_lshlrev_b32_e32 v51, 4, v1
	v_cmp_gt_u32_e64 s[20:21], s33, v50
	v_mov_b32_e32 v50, 0
	v_accvgpr_write_b32 a11, v51
	v_mov_b32_e32 v54, 0
	v_mov_b32_e32 v55, 0
	;; [unrolled: 1-line block ×4, first 2 shown]
	s_and_saveexec_b64 s[22:23], s[20:21]
	s_cbranch_execz .LBB12_26
; %bb.25:
	v_accvgpr_read_b32 v51, a11
	global_load_dwordx4 v[54:57], v51, s[64:65]
.LBB12_26:
	s_or_b64 exec, exec, s[22:23]
	v_add_u32_e32 v58, s66, v1
	v_lshlrev_b32_e32 v1, 2, v58
	v_cmp_gt_u32_e64 s[22:23], s33, v1
	v_mov_b32_e32 v51, 0
	v_mov_b32_e32 v52, 0
	v_mov_b32_e32 v53, 0
	s_and_saveexec_b64 s[24:25], s[22:23]
	s_cbranch_execz .LBB12_28
; %bb.27:
	v_mov_b32_e32 v59, 0
	v_lshl_add_u64 v[50:51], v[58:59], 4, s[64:65]
	global_load_dwordx4 v[50:53], v[50:51], off
.LBB12_28:
	s_or_b64 exec, exec, s[24:25]
	v_add_u32_e32 v60, s66, v58
	v_lshlrev_b32_e32 v1, 2, v60
	v_accvgpr_write_b32 a12, v58
	v_cmp_gt_u32_e64 s[24:25], s33, v1
	v_mov_b32_e32 v58, 0
	v_mov_b32_e32 v62, 0
	v_mov_b32_e32 v63, 0
	v_mov_b32_e32 v64, 0
	v_mov_b32_e32 v65, 0
	s_and_saveexec_b64 s[26:27], s[24:25]
	s_cbranch_execz .LBB12_30
; %bb.29:
	v_mov_b32_e32 v61, 0
	v_mov_b64_e32 v[66:67], v[60:61]
	v_lshl_add_u64 v[60:61], v[66:67], 4, s[64:65]
	global_load_dwordx4 v[62:65], v[60:61], off
	v_mov_b32_e32 v60, v66
.LBB12_30:
	s_or_b64 exec, exec, s[26:27]
	v_add_u32_e32 v66, s66, v60
	v_lshlrev_b32_e32 v1, 2, v66
	v_accvgpr_write_b32 a14, v60
	v_cmp_gt_u32_e64 s[26:27], s33, v1
	v_mov_b32_e32 v59, 0
	v_mov_b32_e32 v60, 0
	v_mov_b32_e32 v61, 0
	s_and_saveexec_b64 s[30:31], s[26:27]
	s_cbranch_execz .LBB12_32
; %bb.31:
	v_mov_b32_e32 v67, 0
	v_lshl_add_u64 v[58:59], v[66:67], 4, s[64:65]
	global_load_dwordx4 v[58:61], v[58:59], off
.LBB12_32:
	s_or_b64 exec, exec, s[30:31]
	v_add_u32_e32 v68, s66, v66
	v_lshlrev_b32_e32 v1, 2, v68
	v_accvgpr_write_b32 a16, v66
	v_cmp_gt_u32_e64 s[30:31], s33, v1
	v_mov_b32_e32 v66, 0
	v_mov_b32_e32 v70, 0
	v_mov_b32_e32 v71, 0
	v_mov_b32_e32 v72, 0
	v_mov_b32_e32 v73, 0
	s_and_saveexec_b64 s[34:35], s[30:31]
	s_cbranch_execz .LBB12_34
; %bb.33:
	v_mov_b32_e32 v69, 0
	v_mov_b64_e32 v[74:75], v[68:69]
	v_lshl_add_u64 v[68:69], v[74:75], 4, s[64:65]
	global_load_dwordx4 v[70:73], v[68:69], off
	v_mov_b32_e32 v68, v74
.LBB12_34:
	s_or_b64 exec, exec, s[34:35]
	v_add_u32_e32 v74, s66, v68
	v_lshlrev_b32_e32 v1, 2, v74
	v_accvgpr_write_b32 a18, v68
	;; [unrolled: 34-line block ×8, first 2 shown]
	v_cmp_gt_u32_e64 s[58:59], s33, v1
	v_mov_b32_e32 v115, 0
	v_mov_b32_e32 v116, 0
	;; [unrolled: 1-line block ×3, first 2 shown]
	s_and_saveexec_b64 s[60:61], s[58:59]
	s_cbranch_execz .LBB12_60
; %bb.59:
	v_mov_b32_e32 v123, 0
	v_lshl_add_u64 v[114:115], v[122:123], 4, s[64:65]
	global_load_dwordx4 v[114:117], v[114:115], off
.LBB12_60:
	s_or_b64 exec, exec, s[60:61]
	v_add_u32_e32 v130, s66, v122
	v_lshlrev_b32_e32 v1, 2, v130
	v_accvgpr_write_b32 a44, v122
	v_cmp_gt_u32_e64 s[60:61], s33, v1
	v_mov_b32_e32 v122, 0
	v_mov_b32_e32 v126, 0
	;; [unrolled: 1-line block ×5, first 2 shown]
	s_and_saveexec_b64 s[62:63], s[60:61]
	s_cbranch_execz .LBB12_62
; %bb.61:
	v_mov_b32_e32 v131, 0
	v_lshl_add_u64 v[124:125], v[130:131], 4, s[64:65]
	global_load_dwordx4 v[126:129], v[124:125], off
.LBB12_62:
	s_or_b64 exec, exec, s[62:63]
	s_load_dword s72, s[0:1], 0x20
	v_add_u32_e32 v124, s66, v130
	v_lshlrev_b32_e32 v1, 2, v124
	v_accvgpr_write_b32 a46, v130
	v_accvgpr_write_b32 a48, v124
	v_cmp_gt_u32_e64 s[62:63], s33, v1
	v_mov_b32_e32 v123, 0
	v_mov_b32_e32 v124, 0
	;; [unrolled: 1-line block ×3, first 2 shown]
	s_and_saveexec_b64 s[0:1], s[62:63]
	s_cbranch_execz .LBB12_64
; %bb.63:
	v_accvgpr_read_b32 v122, a48
	v_mov_b32_e32 v123, 0
	v_lshl_add_u64 v[122:123], v[122:123], 4, s[64:65]
	global_load_dwordx4 v[122:125], v[122:123], off
.LBB12_64:
	s_or_b64 exec, exec, s[0:1]
	s_waitcnt vmcnt(0)
	v_add_f32_e32 v1, v6, v7
	v_add_f32_e32 v130, v8, v9
	v_add_f32_e32 v174, v130, v1
	v_sub_f32_e32 v175, v1, v130
	v_add_f32_e32 v1, v2, v3
	v_add_f32_e32 v130, v4, v5
	v_add_f32_e32 v176, v130, v1
	v_sub_f32_e32 v177, v1, v130
	;; [unrolled: 4-line block ×6, first 2 shown]
	v_add_f32_e32 v1, v30, v31
	v_add_f32_e32 v130, v32, v33
	v_sub_f32_e32 v136, v4, v5
	v_sub_f32_e32 v2, v2, v3
	v_add_f32_e32 v3, v78, v79
	v_add_f32_e32 v4, v80, v81
	v_add_f32_e32 v186, v130, v1
	v_sub_f32_e32 v187, v1, v130
	v_add_f32_e32 v1, v26, v27
	v_add_f32_e32 v130, v28, v29
	v_add_f32_e32 v153, v4, v3
	;; [unrolled: 4-line block ×11, first 2 shown]
	v_sub_f32_e32 v165, v1, v130
	v_add_f32_e32 v1, v54, v55
	v_add_f32_e32 v130, v56, v57
	v_sub_f32_e32 v20, v20, v21
	v_sub_f32_e32 v21, v18, v19
	v_add_f32_e32 v131, v4, v3
	v_sub_f32_e32 v19, v3, v4
	v_add_f32_e32 v3, v102, v103
	v_add_f32_e32 v4, v104, v105
	v_add_f32_e32 v163, v130, v1
	v_sub_f32_e32 v161, v1, v130
	v_add_f32_e32 v1, v50, v51
	v_add_f32_e32 v130, v52, v53
	v_sub_f32_e32 v138, v16, v17
	v_add_f32_e32 v18, v4, v3
	v_sub_f32_e32 v17, v3, v4
	v_add_f32_e32 v3, v98, v99
	v_add_f32_e32 v4, v100, v101
	v_add_f32_e32 v159, v130, v1
	v_sub_f32_e32 v156, v1, v130
	v_add_f32_e32 v1, v62, v63
	v_add_f32_e32 v130, v64, v65
	;; [unrolled: 9-line block ×4, first 2 shown]
	v_sub_f32_e32 v147, v10, v11
	v_add_f32_e32 v12, v4, v3
	v_sub_f32_e32 v11, v3, v4
	v_add_f32_e32 v3, v118, v119
	v_add_f32_e32 v4, v120, v121
	;; [unrolled: 1-line block ×3, first 2 shown]
	v_sub_f32_e32 v135, v1, v130
	v_sub_f32_e32 v1, v8, v9
	;; [unrolled: 1-line block ×3, first 2 shown]
	v_add_f32_e32 v6, v66, v67
	v_add_f32_e32 v7, v68, v69
	;; [unrolled: 1-line block ×3, first 2 shown]
	v_sub_f32_e32 v9, v3, v4
	v_add_f32_e32 v3, v114, v115
	v_add_f32_e32 v4, v116, v117
	;; [unrolled: 1-line block ×3, first 2 shown]
	v_sub_f32_e32 v155, v6, v7
	v_add_f32_e32 v8, v4, v3
	v_sub_f32_e32 v7, v3, v4
	v_add_f32_e32 v3, v126, v127
	v_add_f32_e32 v4, v128, v129
	v_sub_f32_e32 v24, v24, v25
	v_sub_f32_e32 v25, v30, v31
	;; [unrolled: 1-line block ×4, first 2 shown]
	v_add_f32_e32 v6, v4, v3
	v_sub_f32_e32 v4, v3, v4
	v_add_f32_e32 v3, v122, v123
	v_add_f32_e32 v42, v124, v125
	v_sub_f32_e32 v34, v44, v45
	v_add_f32_e32 v5, v42, v3
	v_sub_f32_e32 v3, v3, v42
	;; [unrolled: 2-line block ×4, first 2 shown]
	v_sub_f32_e32 v1, v60, v61
	v_sub_f32_e32 v2, v58, v59
	v_add_f32_e32 v204, v2, v1
	v_sub_f32_e32 v205, v2, v1
	v_sub_f32_e32 v1, v72, v73
	v_sub_f32_e32 v2, v70, v71
	v_add_f32_e32 v206, v2, v1
	v_sub_f32_e32 v207, v2, v1
	;; [unrolled: 4-line block ×13, first 2 shown]
	v_sub_f32_e32 v1, v120, v121
	v_sub_f32_e32 v2, v118, v119
	;; [unrolled: 1-line block ×5, first 2 shown]
	v_add_f32_e32 v48, v147, v144
	v_sub_f32_e32 v49, v147, v144
	v_add_f32_e32 v147, v2, v1
	v_sub_f32_e32 v144, v2, v1
	v_sub_f32_e32 v1, v116, v117
	;; [unrolled: 1-line block ×4, first 2 shown]
	v_add_f32_e32 v46, v141, v138
	v_sub_f32_e32 v47, v141, v138
	v_add_f32_e32 v141, v2, v1
	v_sub_f32_e32 v136, v2, v1
	v_sub_f32_e32 v1, v128, v129
	;; [unrolled: 1-line block ×3, first 2 shown]
	v_add_f32_e32 v128, v2, v1
	v_sub_f32_e32 v129, v2, v1
	v_sub_f32_e32 v1, v124, v125
	;; [unrolled: 1-line block ×6, first 2 shown]
	v_add_f32_e32 v52, v21, v20
	v_sub_f32_e32 v53, v21, v20
	v_add_f32_e32 v130, v2, v1
	v_sub_f32_e32 v20, v2, v1
	v_mbcnt_lo_u32_b32 v1, -1, 0
	v_mbcnt_hi_u32_b32 v1, -1, v1
	v_and_b32_e32 v2, 64, v1
	v_add_u32_e32 v2, 64, v2
	v_xor_b32_e32 v21, 1, v1
	v_cmp_lt_i32_e64 s[0:1], v21, v2
	v_sub_f32_e32 v30, v36, v37
	v_sub_f32_e32 v37, v54, v55
	v_cndmask_b32_e64 v21, v1, v21, s[0:1]
	v_lshlrev_b32_e32 v138, 2, v21
	ds_bpermute_b32 v21, v138, v174
	v_add_f32_e32 v54, v25, v23
	v_sub_f32_e32 v55, v25, v23
	ds_bpermute_b32 v23, v138, v42
	v_sub_f32_e32 v39, v50, v51
	v_add_f32_e32 v50, v22, v24
	v_sub_f32_e32 v51, v22, v24
	v_and_b32_e32 v22, 1, v0
	ds_bpermute_b32 v24, v138, v175
	v_sub_f32_e32 v26, v26, v27
	v_cmp_eq_u32_e64 s[64:65], 0, v22
	ds_bpermute_b32 v25, v138, v43
	v_sub_f32_e32 v27, v40, v41
	v_sub_f32_e32 v36, v56, v57
	v_add_f32_e32 v56, v26, v28
	v_sub_f32_e32 v57, v26, v28
	v_cndmask_b32_e64 v22, -v174, v174, s[64:65]
	ds_bpermute_b32 v26, v138, v176
	v_sub_f32_e32 v41, v62, v63
	v_add_f32_e32 v62, v29, v27
	v_sub_f32_e32 v63, v29, v27
	s_waitcnt lgkmcnt(0)
	v_add_f32_e32 v21, v22, v21
	v_cndmask_b32_e64 v22, -v42, v42, s[64:65]
	ds_bpermute_b32 v27, v138, v44
	v_add_f32_e32 v22, v22, v23
	v_cndmask_b32_e64 v23, -v175, v175, s[64:65]
	ds_bpermute_b32 v28, v138, v177
	;; [unrolled: 3-line block ×3, first 2 shown]
	v_sub_f32_e32 v40, v64, v65
	v_add_f32_e32 v64, v31, v30
	v_sub_f32_e32 v65, v31, v30
	v_add_f32_e32 v24, v24, v25
	v_cndmask_b32_e64 v25, -v176, v176, s[64:65]
	ds_bpermute_b32 v30, v138, v178
	v_add_f32_e32 v25, v25, v26
	v_cndmask_b32_e64 v26, -v44, v44, s[64:65]
	ds_bpermute_b32 v31, v138, v46
	v_add_f32_e32 v194, v33, v32
	v_sub_f32_e32 v195, v33, v32
	s_waitcnt lgkmcnt(4)
	v_add_f32_e32 v26, v26, v27
	v_cndmask_b32_e64 v27, -v177, v177, s[64:65]
	ds_bpermute_b32 v32, v138, v179
	s_waitcnt lgkmcnt(4)
	v_add_f32_e32 v27, v27, v28
	v_cndmask_b32_e64 v28, -v45, v45, s[64:65]
	ds_bpermute_b32 v33, v138, v47
	v_add_f32_e32 v196, v35, v34
	v_sub_f32_e32 v197, v35, v34
	s_waitcnt lgkmcnt(4)
	v_add_f32_e32 v28, v28, v29
	v_cndmask_b32_e64 v29, -v178, v178, s[64:65]
	ds_bpermute_b32 v34, v138, v180
	s_waitcnt lgkmcnt(4)
	;; [unrolled: 10-line block ×5, first 2 shown]
	v_add_f32_e32 v35, v35, v36
	v_cndmask_b32_e64 v36, -v49, v49, s[64:65]
	ds_bpermute_b32 v41, v138, v51
	s_waitcnt lgkmcnt(4)
	v_add_f32_e32 v36, v36, v37
	v_cndmask_b32_e64 v37, -v182, v182, s[64:65]
	ds_bpermute_b32 v42, v138, v184
	s_waitcnt lgkmcnt(4)
	;; [unrolled: 4-line block ×75, first 2 shown]
	v_add_f32_e32 v110, v110, v111
	v_cndmask_b32_e64 v111, -v132, v132, s[64:65]
	s_waitcnt lgkmcnt(3)
	v_add_f32_e32 v111, v111, v112
	v_cndmask_b32_e64 v112, -v219, v219, s[64:65]
	s_waitcnt lgkmcnt(2)
	;; [unrolled: 3-line block ×3, first 2 shown]
	v_add_f32_e32 v113, v113, v114
	ds_bpermute_b32 v116, v138, v19
	v_cndmask_b32_e64 v114, -v173, v173, s[64:65]
	s_waitcnt lgkmcnt(1)
	v_add_f32_e32 v114, v114, v115
	ds_bpermute_b32 v115, v138, v171
	v_cndmask_b32_e64 v19, -v19, v19, s[64:65]
	s_waitcnt lgkmcnt(1)
	;; [unrolled: 4-line block ×21, first 2 shown]
	v_add_f32_e32 v124, v124, v125
	ds_bpermute_b32 v125, v138, v144
	ds_bpermute_b32 v131, v138, v7
	v_cndmask_b32_e64 v9, -v9, v9, s[64:65]
	s_waitcnt lgkmcnt(2)
	v_add_f32_e32 v9, v9, v126
	ds_bpermute_b32 v126, v138, v8
	v_cndmask_b32_e64 v127, -v144, v144, s[64:65]
	s_waitcnt lgkmcnt(2)
	v_add_f32_e32 v125, v127, v125
	;; [unrolled: 4-line block ×4, first 2 shown]
	v_cndmask_b32_e64 v126, -v141, v141, s[64:65]
	s_waitcnt lgkmcnt(1)
	v_add_f32_e32 v126, v126, v127
	ds_bpermute_b32 v127, v138, v136
	v_cndmask_b32_e64 v6, -v6, v6, s[64:65]
	s_waitcnt lgkmcnt(1)
	v_add_f32_e32 v6, v6, v131
	ds_bpermute_b32 v131, v138, v4
	;; [unrolled: 4-line block ×7, first 2 shown]
	v_cndmask_b32_e64 v3, -v3, v3, s[64:65]
	ds_bpermute_b32 v133, v138, v20
	s_waitcnt lgkmcnt(2)
	v_add_f32_e32 v3, v3, v5
	v_cndmask_b32_e64 v5, -v20, v20, s[64:65]
	v_xor_b32_e32 v20, 2, v1
	v_cmp_lt_i32_e64 s[0:1], v20, v2
	v_cndmask_b32_e64 v130, -v130, v130, s[64:65]
	s_waitcnt lgkmcnt(1)
	v_add_f32_e32 v130, v130, v132
	v_cndmask_b32_e64 v20, v1, v20, s[0:1]
	v_lshlrev_b32_e32 v139, 2, v20
	ds_bpermute_b32 v20, v139, v21
	v_and_b32_e32 v132, 2, v0
	v_cmp_eq_u32_e64 s[66:67], 0, v132
	ds_bpermute_b32 v132, v139, v23
	s_waitcnt lgkmcnt(2)
	v_add_f32_e32 v5, v5, v133
	ds_bpermute_b32 v133, v139, v22
	v_cndmask_b32_e64 v21, -v21, v21, s[66:67]
	s_waitcnt lgkmcnt(2)
	v_add_f32_e32 v20, v21, v20
	v_cndmask_b32_e64 v21, -v22, v22, s[66:67]
	v_cndmask_b32_e64 v22, -v23, v23, s[66:67]
	s_waitcnt lgkmcnt(1)
	v_add_f32_e32 v22, v22, v132
	ds_bpermute_b32 v132, v139, v25
	s_waitcnt lgkmcnt(1)
	v_add_f32_e32 v21, v21, v133
	ds_bpermute_b32 v133, v139, v24
	v_cndmask_b32_e64 v23, -v24, v24, s[66:67]
	v_cndmask_b32_e64 v24, -v25, v25, s[66:67]
	s_waitcnt lgkmcnt(1)
	v_add_f32_e32 v24, v24, v132
	ds_bpermute_b32 v132, v139, v27
	s_waitcnt lgkmcnt(1)
	v_add_f32_e32 v23, v23, v133
	ds_bpermute_b32 v133, v139, v26
	;; [unrolled: 8-line block ×46, first 2 shown]
	v_cndmask_b32_e64 v113, -v114, v114, s[66:67]
	ds_bpermute_b32 v114, v139, v115
	v_cndmask_b32_e64 v19, -v19, v19, s[66:67]
	s_waitcnt lgkmcnt(2)
	v_add_f32_e32 v19, v19, v132
	ds_bpermute_b32 v132, v139, v18
	v_cndmask_b32_e64 v115, -v115, v115, s[66:67]
	s_waitcnt lgkmcnt(1)
	v_add_f32_e32 v114, v115, v114
	;; [unrolled: 4-line block ×30, first 2 shown]
	v_cndmask_b32_e64 v129, -v131, v131, s[66:67]
	ds_bpermute_b32 v131, v139, v130
	s_waitcnt lgkmcnt(1)
	v_add_f32_e32 v129, v129, v132
	ds_bpermute_b32 v132, v139, v3
	v_cndmask_b32_e64 v130, -v130, v130, s[66:67]
	v_add_f32_e32 v113, v113, v133
	s_waitcnt lgkmcnt(1)
	v_add_f32_e32 v130, v130, v131
	v_xor_b32_e32 v131, 4, v1
	ds_bpermute_b32 v133, v139, v5
	v_cmp_lt_i32_e64 s[0:1], v131, v2
	v_cndmask_b32_e64 v3, -v3, v3, s[66:67]
	s_waitcnt lgkmcnt(1)
	v_add_f32_e32 v3, v3, v132
	v_cndmask_b32_e64 v131, v1, v131, s[0:1]
	v_lshlrev_b32_e32 v131, 2, v131
	ds_bpermute_b32 v132, v131, v20
	v_cndmask_b32_e64 v5, -v5, v5, s[66:67]
	s_waitcnt lgkmcnt(1)
	v_add_f32_e32 v5, v5, v133
	v_and_b32_e32 v133, 4, v0
	v_cmp_eq_u32_e64 s[0:1], 0, v133
	ds_bpermute_b32 v133, v131, v23
	ds_bpermute_b32 v134, v131, v21
	v_cndmask_b32_e64 v20, -v20, v20, s[0:1]
	s_waitcnt lgkmcnt(2)
	v_add_f32_e32 v20, v20, v132
	ds_bpermute_b32 v132, v131, v22
	v_cndmask_b32_e64 v22, -v22, v22, s[0:1]
	v_cndmask_b32_e64 v23, -v23, v23, s[0:1]
	s_waitcnt lgkmcnt(2)
	v_add_f32_e32 v23, v23, v133
	ds_bpermute_b32 v133, v131, v25
	s_waitcnt lgkmcnt(1)
	v_add_f32_e32 v22, v22, v132
	ds_bpermute_b32 v132, v131, v24
	v_cndmask_b32_e64 v24, -v24, v24, s[0:1]
	v_cndmask_b32_e64 v25, -v25, v25, s[0:1]
	s_waitcnt lgkmcnt(1)
	v_add_f32_e32 v25, v25, v133
	ds_bpermute_b32 v133, v131, v27
	;; [unrolled: 8-line block ×61, first 2 shown]
	s_waitcnt lgkmcnt(1)
	v_add_f32_e32 v4, v4, v132
	ds_bpermute_b32 v132, v131, v129
	v_cndmask_b32_e64 v129, -v129, v129, s[0:1]
	v_cndmask_b32_e64 v21, -v21, v21, s[0:1]
	v_cndmask_b32_e64 v130, -v130, v130, s[0:1]
	s_waitcnt lgkmcnt(1)
	v_add_f32_e32 v130, v130, v133
	s_waitcnt lgkmcnt(0)
	v_add_f32_e32 v129, v129, v132
	ds_bpermute_b32 v132, v131, v3
	ds_bpermute_b32 v131, v131, v5
	v_cndmask_b32_e64 v5, -v5, v5, s[0:1]
	v_cndmask_b32_e64 v3, -v3, v3, s[0:1]
	v_and_b32_e32 v133, 8, v0
	s_waitcnt lgkmcnt(1)
	v_add_f32_e32 v3, v3, v132
	s_waitcnt lgkmcnt(0)
	v_add_f32_e32 v5, v5, v131
	v_xor_b32_e32 v131, 8, v1
	v_cmp_lt_i32_e64 s[0:1], v131, v2
	v_add_f32_e32 v21, v21, v134
	s_nop 0
	v_cndmask_b32_e64 v131, v1, v131, s[0:1]
	v_lshlrev_b32_e32 v131, 2, v131
	ds_bpermute_b32 v132, v131, v20
	v_cmp_eq_u32_e64 s[0:1], 0, v133
	ds_bpermute_b32 v133, v131, v23
	ds_bpermute_b32 v134, v131, v21
	v_cndmask_b32_e64 v20, -v20, v20, s[0:1]
	s_waitcnt lgkmcnt(2)
	v_add_f32_e32 v20, v20, v132
	ds_bpermute_b32 v132, v131, v22
	v_cndmask_b32_e64 v22, -v22, v22, s[0:1]
	v_cndmask_b32_e64 v23, -v23, v23, s[0:1]
	s_waitcnt lgkmcnt(2)
	v_add_f32_e32 v23, v23, v133
	ds_bpermute_b32 v133, v131, v25
	s_waitcnt lgkmcnt(1)
	v_add_f32_e32 v22, v22, v132
	ds_bpermute_b32 v132, v131, v24
	v_cndmask_b32_e64 v24, -v24, v24, s[0:1]
	v_cndmask_b32_e64 v25, -v25, v25, s[0:1]
	s_waitcnt lgkmcnt(1)
	v_add_f32_e32 v25, v25, v133
	ds_bpermute_b32 v133, v131, v27
	;; [unrolled: 8-line block ×60, first 2 shown]
	s_waitcnt lgkmcnt(1)
	v_add_f32_e32 v6, v6, v132
	ds_bpermute_b32 v132, v131, v4
	v_cndmask_b32_e64 v4, -v4, v4, s[0:1]
	v_cndmask_b32_e64 v128, -v128, v128, s[0:1]
	;; [unrolled: 1-line block ×3, first 2 shown]
	s_waitcnt lgkmcnt(1)
	v_add_f32_e32 v128, v128, v133
	s_waitcnt lgkmcnt(0)
	v_add_f32_e32 v4, v4, v132
	ds_bpermute_b32 v132, v131, v129
	v_cndmask_b32_e64 v129, -v129, v129, s[0:1]
	ds_bpermute_b32 v133, v131, v130
	v_cndmask_b32_e64 v130, -v130, v130, s[0:1]
	v_add_f32_e32 v21, v21, v134
	s_waitcnt lgkmcnt(1)
	v_add_f32_e32 v235, v129, v132
	ds_bpermute_b32 v129, v131, v3
	v_cndmask_b32_e64 v3, -v3, v3, s[0:1]
	ds_bpermute_b32 v131, v131, v5
	v_cndmask_b32_e64 v5, -v5, v5, s[0:1]
	s_waitcnt lgkmcnt(2)
	v_add_f32_e32 v236, v130, v133
	s_waitcnt lgkmcnt(1)
	v_add_f32_e32 v3, v3, v129
	v_xor_b32_e32 v129, 16, v1
	v_cmp_lt_i32_e64 s[0:1], v129, v2
	v_and_b32_e32 v130, 16, v0
	s_waitcnt lgkmcnt(0)
	v_add_f32_e32 v5, v5, v131
	v_cndmask_b32_e64 v129, v1, v129, s[0:1]
	v_lshlrev_b32_e32 v238, 2, v129
	ds_bpermute_b32 v129, v238, v20
	v_cmp_eq_u32_e64 s[0:1], 0, v130
	ds_bpermute_b32 v130, v238, v23
	ds_bpermute_b32 v131, v238, v21
	v_cndmask_b32_e64 v20, -v20, v20, s[0:1]
	s_waitcnt lgkmcnt(2)
	v_add_f32_e32 v20, v20, v129
	ds_bpermute_b32 v129, v238, v22
	v_cndmask_b32_e64 v22, -v22, v22, s[0:1]
	v_cndmask_b32_e64 v23, -v23, v23, s[0:1]
	s_waitcnt lgkmcnt(2)
	v_add_f32_e32 v23, v23, v130
	ds_bpermute_b32 v130, v238, v25
	s_waitcnt lgkmcnt(1)
	v_add_f32_e32 v22, v22, v129
	ds_bpermute_b32 v129, v238, v24
	v_cndmask_b32_e64 v24, -v24, v24, s[0:1]
	v_cndmask_b32_e64 v25, -v25, v25, s[0:1]
	s_waitcnt lgkmcnt(1)
	v_add_f32_e32 v25, v25, v130
	ds_bpermute_b32 v130, v238, v27
	;; [unrolled: 8-line block ×6, first 2 shown]
	s_waitcnt lgkmcnt(1)
	v_add_f32_e32 v32, v32, v129
	ds_bpermute_b32 v129, v238, v34
	v_cndmask_b32_e64 v34, -v34, v34, s[0:1]
	v_cndmask_b32_e64 v35, -v35, v35, s[0:1]
	v_cndmask_b32_e64 v21, -v21, v21, s[0:1]
	s_waitcnt lgkmcnt(1)
	v_add_f32_e32 v130, v35, v130
	s_waitcnt lgkmcnt(0)
	v_add_f32_e32 v129, v34, v129
	ds_bpermute_b32 v34, v238, v36
	ds_bpermute_b32 v35, v238, v37
	v_cndmask_b32_e64 v36, -v36, v36, s[0:1]
	v_add_f32_e32 v21, v21, v131
	s_barrier
	s_waitcnt lgkmcnt(1)
	v_add_f32_e32 v131, v36, v34
	ds_bpermute_b32 v34, v238, v38
	v_cndmask_b32_e64 v36, -v37, v37, s[0:1]
	s_waitcnt lgkmcnt(1)
	v_add_f32_e32 v132, v36, v35
	ds_bpermute_b32 v35, v238, v39
	v_cndmask_b32_e64 v36, -v38, v38, s[0:1]
	;; [unrolled: 4-line block ×107, first 2 shown]
	s_waitcnt lgkmcnt(1)
	v_add_f32_e32 v234, v6, v7
	v_cndmask_b32_e64 v6, -v235, v235, s[0:1]
	ds_bpermute_b32 v8, v238, v5
	s_waitcnt lgkmcnt(1)
	v_add_f32_e32 v237, v6, v4
	ds_bpermute_b32 v4, v238, v3
	v_cndmask_b32_e64 v3, -v3, v3, s[0:1]
	ds_bpermute_b32 v7, v238, v236
	v_cndmask_b32_e64 v6, -v236, v236, s[0:1]
	s_waitcnt lgkmcnt(0)
	v_add_f32_e32 v235, v3, v4
	v_cndmask_b32_e64 v3, -v5, v5, s[0:1]
	v_add_f32_e32 v236, v3, v8
	v_xor_b32_e32 v3, 32, v1
	v_cmp_lt_i32_e64 s[0:1], v3, v2
	v_add_f32_e32 v238, v6, v7
	s_mov_b32 s73, s72
	v_cndmask_b32_e64 v1, v1, v3, s[0:1]
	v_lshlrev_b32_e32 v1, 2, v1
	ds_bpermute_b32 v2, v1, v20
	ds_bpermute_b32 v4, v1, v21
	v_and_b32_e32 v3, 32, v0
	v_cmp_eq_u32_e64 s[0:1], 0, v3
	s_nop 1
	v_cndmask_b32_e64 v3, -v20, v20, s[0:1]
	s_waitcnt lgkmcnt(1)
	v_add_f32_e32 v34, v3, v2
	ds_bpermute_b32 v2, v1, v22
	v_cndmask_b32_e64 v3, -v21, v21, s[0:1]
	s_waitcnt lgkmcnt(1)
	v_add_f32_e32 v35, v3, v4
	ds_bpermute_b32 v3, v1, v23
	;; [unrolled: 4-line block ×106, first 2 shown]
	ds_bpermute_b32 v15, v1, v219
	ds_bpermute_b32 v16, v1, v220
	v_cndmask_b32_e64 v13, -v13, v13, s[0:1]
	ds_bpermute_b32 v17, v1, v221
	s_waitcnt lgkmcnt(4)
	v_add_f32_e32 v12, v13, v12
	v_cndmask_b32_e64 v13, -v218, v218, s[0:1]
	ds_bpermute_b32 v18, v1, v222
	s_waitcnt lgkmcnt(4)
	v_add_f32_e32 v13, v13, v14
	;; [unrolled: 4-line block ×18, first 2 shown]
	v_cndmask_b32_e64 v30, -v237, v237, s[0:1]
	s_waitcnt lgkmcnt(3)
	v_add_f32_e32 v30, v30, v31
	v_cndmask_b32_e64 v31, -v238, v238, s[0:1]
	s_waitcnt lgkmcnt(2)
	v_add_f32_e32 v31, v31, v32
	;; [unrolled: 3-line block ×4, first 2 shown]
	v_lshrrev_b32_e32 v1, 6, v0
	v_and_b32_e32 v130, 3, v0
	v_lshrrev_b32_e32 v131, 2, v0
	v_xor_b32_e32 v0, v1, v0
	v_lshl_add_u32 v142, v0, 4, 0
	v_lshlrev_b32_e32 v0, 6, v130
	v_bitop3_b32 v0, v0, v130, v131 bitop3:0x36
	v_lshl_add_u32 v143, v0, 4, 0
	ds_write_b128 v142, v[34:37]
	ds_write_b128 v142, v[38:41] offset:4096
	ds_write_b128 v142, v[42:45] offset:8192
	;; [unrolled: 1-line block ×7, first 2 shown]
	s_waitcnt lgkmcnt(0)
	s_barrier
	ds_read_b128 v[130:133], v143
	ds_read_b128 v[134:137], v143 offset:4096
	ds_read_b128 v[144:147], v143 offset:8192
	;; [unrolled: 1-line block ×7, first 2 shown]
	s_waitcnt lgkmcnt(7)
	ds_bpermute_b32 v0, v138, v130
	ds_bpermute_b32 v1, v138, v131
	s_waitcnt lgkmcnt(0)
	s_barrier
	ds_write_b128 v142, v[66:69]
	ds_write_b128 v142, v[70:73] offset:4096
	ds_write_b128 v142, v[74:77] offset:8192
	;; [unrolled: 1-line block ×7, first 2 shown]
	v_cndmask_b32_e64 v70, -v130, v130, s[64:65]
	v_add_f32_e32 v0, v70, v0
	ds_bpermute_b32 v70, v138, v132
	v_cndmask_b32_e64 v71, -v131, v131, s[64:65]
	v_add_f32_e32 v1, v71, v1
	ds_bpermute_b32 v71, v138, v133
	v_cndmask_b32_e64 v72, -v132, v132, s[64:65]
	s_waitcnt lgkmcnt(1)
	v_add_f32_e32 v70, v72, v70
	ds_bpermute_b32 v72, v138, v134
	v_cndmask_b32_e64 v73, -v133, v133, s[64:65]
	s_waitcnt lgkmcnt(1)
	;; [unrolled: 4-line block ×29, first 2 shown]
	s_barrier
	ds_read_b128 v[164:167], v143
	ds_read_b128 v[66:69], v143 offset:4096
	ds_read_b128 v[58:61], v143 offset:8192
	;; [unrolled: 1-line block ×7, first 2 shown]
	v_add_f32_e32 v64, v64, v96
	s_waitcnt lgkmcnt(7)
	ds_bpermute_b32 v96, v138, v164
	v_cndmask_b32_e64 v65, -v65, v65, s[64:65]
	v_add_f32_e32 v65, v65, v97
	ds_bpermute_b32 v97, v138, v165
	s_waitcnt lgkmcnt(0)
	s_barrier
	ds_write_b128 v142, v[98:101]
	ds_write_b128 v142, v[102:105] offset:4096
	ds_write_b128 v142, v[106:109] offset:8192
	;; [unrolled: 1-line block ×7, first 2 shown]
	v_cndmask_b32_e64 v98, -v164, v164, s[64:65]
	v_add_f32_e32 v98, v98, v96
	ds_bpermute_b32 v96, v138, v166
	v_cndmask_b32_e64 v99, -v165, v165, s[64:65]
	v_add_f32_e32 v99, v99, v97
	ds_bpermute_b32 v97, v138, v167
	v_cndmask_b32_e64 v100, -v166, v166, s[64:65]
	s_waitcnt lgkmcnt(1)
	v_add_f32_e32 v100, v100, v96
	ds_bpermute_b32 v96, v138, v66
	v_cndmask_b32_e64 v101, -v167, v167, s[64:65]
	s_waitcnt lgkmcnt(1)
	v_add_f32_e32 v101, v101, v97
	ds_bpermute_b32 v97, v138, v67
	v_cndmask_b32_e64 v66, -v66, v66, s[64:65]
	s_waitcnt lgkmcnt(1)
	v_add_f32_e32 v102, v66, v96
	ds_bpermute_b32 v66, v138, v68
	v_cndmask_b32_e64 v67, -v67, v67, s[64:65]
	s_waitcnt lgkmcnt(1)
	v_add_f32_e32 v103, v67, v97
	ds_bpermute_b32 v67, v138, v69
	v_cndmask_b32_e64 v68, -v68, v68, s[64:65]
	s_waitcnt lgkmcnt(1)
	v_add_f32_e32 v104, v68, v66
	ds_bpermute_b32 v66, v138, v58
	v_cndmask_b32_e64 v68, -v69, v69, s[64:65]
	s_waitcnt lgkmcnt(1)
	v_add_f32_e32 v105, v68, v67
	ds_bpermute_b32 v67, v138, v59
	v_cndmask_b32_e64 v58, -v58, v58, s[64:65]
	s_waitcnt lgkmcnt(1)
	v_add_f32_e32 v106, v58, v66
	ds_bpermute_b32 v58, v138, v60
	v_cndmask_b32_e64 v59, -v59, v59, s[64:65]
	s_waitcnt lgkmcnt(1)
	v_add_f32_e32 v107, v59, v67
	ds_bpermute_b32 v59, v138, v61
	v_cndmask_b32_e64 v60, -v60, v60, s[64:65]
	s_waitcnt lgkmcnt(1)
	v_add_f32_e32 v108, v60, v58
	ds_bpermute_b32 v58, v138, v54
	v_cndmask_b32_e64 v60, -v61, v61, s[64:65]
	s_waitcnt lgkmcnt(1)
	v_add_f32_e32 v109, v60, v59
	ds_bpermute_b32 v59, v138, v55
	v_cndmask_b32_e64 v54, -v54, v54, s[64:65]
	s_waitcnt lgkmcnt(1)
	v_add_f32_e32 v110, v54, v58
	ds_bpermute_b32 v54, v138, v56
	v_cndmask_b32_e64 v55, -v55, v55, s[64:65]
	s_waitcnt lgkmcnt(1)
	v_add_f32_e32 v111, v55, v59
	ds_bpermute_b32 v55, v138, v57
	v_cndmask_b32_e64 v56, -v56, v56, s[64:65]
	s_waitcnt lgkmcnt(1)
	v_add_f32_e32 v112, v56, v54
	ds_bpermute_b32 v54, v138, v50
	v_cndmask_b32_e64 v56, -v57, v57, s[64:65]
	s_waitcnt lgkmcnt(1)
	v_add_f32_e32 v113, v56, v55
	ds_bpermute_b32 v55, v138, v51
	v_cndmask_b32_e64 v50, -v50, v50, s[64:65]
	s_waitcnt lgkmcnt(1)
	v_add_f32_e32 v114, v50, v54
	ds_bpermute_b32 v50, v138, v52
	v_cndmask_b32_e64 v51, -v51, v51, s[64:65]
	s_waitcnt lgkmcnt(1)
	v_add_f32_e32 v115, v51, v55
	ds_bpermute_b32 v51, v138, v53
	v_cndmask_b32_e64 v52, -v52, v52, s[64:65]
	s_waitcnt lgkmcnt(1)
	v_add_f32_e32 v116, v52, v50
	ds_bpermute_b32 v50, v138, v46
	v_cndmask_b32_e64 v52, -v53, v53, s[64:65]
	s_waitcnt lgkmcnt(1)
	v_add_f32_e32 v117, v52, v51
	ds_bpermute_b32 v51, v138, v47
	v_cndmask_b32_e64 v46, -v46, v46, s[64:65]
	s_waitcnt lgkmcnt(1)
	v_add_f32_e32 v118, v46, v50
	ds_bpermute_b32 v46, v138, v48
	v_cndmask_b32_e64 v47, -v47, v47, s[64:65]
	s_waitcnt lgkmcnt(1)
	v_add_f32_e32 v119, v47, v51
	ds_bpermute_b32 v47, v138, v49
	v_cndmask_b32_e64 v48, -v48, v48, s[64:65]
	s_waitcnt lgkmcnt(1)
	v_add_f32_e32 v120, v48, v46
	ds_bpermute_b32 v46, v138, v42
	v_cndmask_b32_e64 v48, -v49, v49, s[64:65]
	s_waitcnt lgkmcnt(1)
	v_add_f32_e32 v121, v48, v47
	ds_bpermute_b32 v47, v138, v43
	v_cndmask_b32_e64 v42, -v42, v42, s[64:65]
	s_waitcnt lgkmcnt(1)
	v_add_f32_e32 v122, v42, v46
	ds_bpermute_b32 v42, v138, v44
	v_cndmask_b32_e64 v43, -v43, v43, s[64:65]
	s_waitcnt lgkmcnt(1)
	v_add_f32_e32 v123, v43, v47
	ds_bpermute_b32 v43, v138, v45
	v_cndmask_b32_e64 v44, -v44, v44, s[64:65]
	s_waitcnt lgkmcnt(1)
	v_add_f32_e32 v124, v44, v42
	ds_bpermute_b32 v42, v138, v34
	v_cndmask_b32_e64 v44, -v45, v45, s[64:65]
	s_waitcnt lgkmcnt(1)
	v_add_f32_e32 v125, v44, v43
	ds_bpermute_b32 v43, v138, v35
	v_cndmask_b32_e64 v34, -v34, v34, s[64:65]
	s_waitcnt lgkmcnt(0)
	s_barrier
	ds_read_b128 v[38:41], v143 offset:28672
	ds_read_b128 v[126:129], v143 offset:24576
	v_add_f32_e32 v34, v34, v42
	ds_bpermute_b32 v42, v138, v36
	v_cndmask_b32_e64 v35, -v35, v35, s[64:65]
	v_add_f32_e32 v35, v35, v43
	ds_bpermute_b32 v43, v138, v37
	v_cndmask_b32_e64 v36, -v36, v36, s[64:65]
	s_waitcnt lgkmcnt(1)
	v_add_f32_e32 v36, v36, v42
	ds_bpermute_b32 v42, v138, v38
	v_cndmask_b32_e64 v37, -v37, v37, s[64:65]
	s_waitcnt lgkmcnt(1)
	;; [unrolled: 4-line block ×65, first 2 shown]
	v_add_f32_e32 v100, v90, v0
	v_cndmask_b32_e64 v90, -v125, v125, s[66:67]
	ds_read_b128 v[106:109], v143 offset:4096
	s_waitcnt lgkmcnt(1)
	v_add_f32_e32 v101, v90, v1
	ds_read_b128 v[90:93], v143
	ds_bpermute_b32 v0, v139, v34
	ds_bpermute_b32 v1, v139, v35
	v_cndmask_b32_e64 v34, -v34, v34, s[66:67]
	s_mul_i32 s0, s78, s3
	s_waitcnt lgkmcnt(2)
	ds_bpermute_b32 v110, v138, v92
	ds_bpermute_b32 v111, v138, v93
	v_cndmask_b32_e64 v93, -v93, v93, s[64:65]
	v_cndmask_b32_e64 v92, -v92, v92, s[64:65]
	s_waitcnt lgkmcnt(3)
	v_add_f32_e32 v102, v34, v0
	ds_bpermute_b32 v0, v139, v36
	s_waitcnt lgkmcnt(1)
	v_pk_add_f32 v[92:93], v[92:93], v[110:111]
	ds_bpermute_b32 v110, v139, v92
	ds_bpermute_b32 v111, v139, v93
	v_cndmask_b32_e64 v93, -v93, v93, s[66:67]
	v_cndmask_b32_e64 v92, -v92, v92, s[66:67]
	;; [unrolled: 1-line block ×3, first 2 shown]
	v_add_f32_e32 v103, v34, v1
	s_waitcnt lgkmcnt(0)
	v_pk_add_f32 v[92:93], v[92:93], v[110:111]
	ds_bpermute_b32 v110, v138, v108
	ds_bpermute_b32 v111, v138, v109
	;; [unrolled: 1-line block ×3, first 2 shown]
	v_cndmask_b32_e64 v34, -v36, v36, s[66:67]
	v_cndmask_b32_e64 v109, -v109, v109, s[64:65]
	;; [unrolled: 1-line block ×3, first 2 shown]
	v_add_f32_e32 v104, v34, v0
	ds_bpermute_b32 v0, v139, v130
	v_cndmask_b32_e64 v34, -v37, v37, s[66:67]
	s_waitcnt lgkmcnt(2)
	v_pk_add_f32 v[108:109], v[108:109], v[110:111]
	s_waitcnt lgkmcnt(1)
	v_add_f32_e32 v105, v34, v1
	ds_bpermute_b32 v1, v139, v131
	ds_bpermute_b32 v114, v139, v108
	;; [unrolled: 1-line block ×3, first 2 shown]
	ds_read_b128 v[110:113], v143 offset:8192
	v_cndmask_b32_e64 v34, -v130, v130, s[66:67]
	s_waitcnt lgkmcnt(4)
	v_add_f32_e32 v34, v34, v0
	v_cndmask_b32_e64 v0, -v131, v131, s[66:67]
	ds_bpermute_b32 v36, v139, v132
	v_cndmask_b32_e64 v109, -v109, v109, s[66:67]
	v_cndmask_b32_e64 v108, -v108, v108, s[66:67]
	s_waitcnt lgkmcnt(4)
	v_add_f32_e32 v35, v0, v1
	ds_bpermute_b32 v0, v139, v133
	s_waitcnt lgkmcnt(3)
	v_pk_add_f32 v[108:109], v[108:109], v[114:115]
	ds_read_b128 v[114:117], v143 offset:12288
	s_waitcnt lgkmcnt(3)
	ds_bpermute_b32 v118, v138, v112
	ds_bpermute_b32 v119, v138, v113
	v_cndmask_b32_e64 v1, -v132, v132, s[66:67]
	s_waitcnt lgkmcnt(4)
	v_add_f32_e32 v36, v1, v36
	v_cndmask_b32_e64 v1, -v133, v133, s[66:67]
	v_cndmask_b32_e64 v113, -v113, v113, s[64:65]
	v_cndmask_b32_e64 v112, -v112, v112, s[64:65]
	s_waitcnt lgkmcnt(3)
	v_add_f32_e32 v37, v1, v0
	ds_bpermute_b32 v0, v138, v90
	ds_bpermute_b32 v1, v138, v91
	s_waitcnt lgkmcnt(2)
	v_pk_add_f32 v[112:113], v[112:113], v[118:119]
	ds_bpermute_b32 v118, v139, v112
	ds_bpermute_b32 v119, v139, v113
	v_cndmask_b32_e64 v91, -v91, v91, s[64:65]
	v_cndmask_b32_e64 v90, -v90, v90, s[64:65]
	s_waitcnt lgkmcnt(2)
	v_pk_add_f32 v[0:1], v[90:91], v[0:1]
	v_cndmask_b32_e64 v113, -v113, v113, s[66:67]
	v_cndmask_b32_e64 v112, -v112, v112, s[66:67]
	ds_bpermute_b32 v90, v139, v0
	ds_bpermute_b32 v91, v139, v1
	s_waitcnt lgkmcnt(2)
	v_pk_add_f32 v[112:113], v[112:113], v[118:119]
	ds_bpermute_b32 v118, v138, v116
	ds_bpermute_b32 v119, v138, v117
	v_cndmask_b32_e64 v1, -v1, v1, s[66:67]
	v_cndmask_b32_e64 v0, -v0, v0, s[66:67]
	;; [unrolled: 1-line block ×4, first 2 shown]
	s_waitcnt lgkmcnt(2)
	v_pk_add_f32 v[90:91], v[0:1], v[90:91]
	ds_bpermute_b32 v0, v138, v106
	ds_bpermute_b32 v1, v138, v107
	s_waitcnt lgkmcnt(2)
	v_pk_add_f32 v[116:117], v[116:117], v[118:119]
	ds_bpermute_b32 v122, v139, v116
	ds_bpermute_b32 v123, v139, v117
	v_cndmask_b32_e64 v107, -v107, v107, s[64:65]
	v_cndmask_b32_e64 v106, -v106, v106, s[64:65]
	s_waitcnt lgkmcnt(2)
	v_pk_add_f32 v[0:1], v[106:107], v[0:1]
	v_cndmask_b32_e64 v117, -v117, v117, s[66:67]
	v_cndmask_b32_e64 v116, -v116, v116, s[66:67]
	ds_bpermute_b32 v106, v139, v0
	ds_bpermute_b32 v107, v139, v1
	ds_read_b128 v[118:121], v143 offset:16384
	s_waitcnt lgkmcnt(3)
	v_pk_add_f32 v[116:117], v[116:117], v[122:123]
	ds_read_b128 v[122:125], v143 offset:20480
	s_waitcnt lgkmcnt(0)
	s_barrier
	ds_write_b128 v142, v[2:5]
	ds_write_b128 v142, v[6:9] offset:4096
	ds_write_b128 v142, v[10:13] offset:8192
	;; [unrolled: 1-line block ×7, first 2 shown]
	s_waitcnt lgkmcnt(0)
	s_barrier
	ds_read_b128 v[4:7], v143
	ds_read_b128 v[8:11], v143 offset:4096
	v_cndmask_b32_e64 v1, -v1, v1, s[66:67]
	v_cndmask_b32_e64 v0, -v0, v0, s[66:67]
	v_pk_add_f32 v[106:107], v[0:1], v[106:107]
	ds_bpermute_b32 v0, v138, v110
	ds_bpermute_b32 v1, v138, v111
	s_waitcnt lgkmcnt(3)
	ds_bpermute_b32 v12, v138, v4
	ds_bpermute_b32 v13, v138, v5
	;; [unrolled: 1-line block ×4, first 2 shown]
	v_cndmask_b32_e64 v111, -v111, v111, s[64:65]
	v_cndmask_b32_e64 v110, -v110, v110, s[64:65]
	;; [unrolled: 1-line block ×6, first 2 shown]
	s_waitcnt lgkmcnt(4)
	v_pk_add_f32 v[0:1], v[110:111], v[0:1]
	s_waitcnt lgkmcnt(0)
	v_pk_add_f32 v[6:7], v[6:7], v[14:15]
	v_pk_add_f32 v[4:5], v[4:5], v[12:13]
	ds_bpermute_b32 v110, v139, v0
	ds_bpermute_b32 v111, v139, v1
	;; [unrolled: 1-line block ×6, first 2 shown]
	v_cndmask_b32_e64 v1, -v1, v1, s[66:67]
	v_cndmask_b32_e64 v0, -v0, v0, s[66:67]
	;; [unrolled: 1-line block ×6, first 2 shown]
	s_waitcnt lgkmcnt(4)
	v_pk_add_f32 v[110:111], v[0:1], v[110:111]
	ds_bpermute_b32 v0, v138, v114
	ds_bpermute_b32 v1, v138, v115
	s_waitcnt lgkmcnt(2)
	v_pk_add_f32 v[6:7], v[6:7], v[14:15]
	v_pk_add_f32 v[4:5], v[4:5], v[12:13]
	ds_bpermute_b32 v12, v138, v8
	ds_bpermute_b32 v13, v138, v9
	;; [unrolled: 1-line block ×4, first 2 shown]
	v_cndmask_b32_e64 v115, -v115, v115, s[64:65]
	v_cndmask_b32_e64 v114, -v114, v114, s[64:65]
	;; [unrolled: 1-line block ×6, first 2 shown]
	s_waitcnt lgkmcnt(4)
	v_pk_add_f32 v[0:1], v[114:115], v[0:1]
	s_waitcnt lgkmcnt(0)
	v_pk_add_f32 v[10:11], v[10:11], v[14:15]
	v_pk_add_f32 v[8:9], v[8:9], v[12:13]
	ds_bpermute_b32 v114, v139, v0
	ds_bpermute_b32 v115, v139, v1
	;; [unrolled: 1-line block ×6, first 2 shown]
	ds_read_b128 v[12:15], v143 offset:8192
	v_cndmask_b32_e64 v1, -v1, v1, s[66:67]
	v_cndmask_b32_e64 v0, -v0, v0, s[66:67]
	;; [unrolled: 1-line block ×6, first 2 shown]
	s_waitcnt lgkmcnt(5)
	v_pk_add_f32 v[114:115], v[0:1], v[114:115]
	ds_bpermute_b32 v0, v138, v118
	ds_bpermute_b32 v1, v138, v119
	;; [unrolled: 1-line block ×4, first 2 shown]
	s_waitcnt lgkmcnt(5)
	v_pk_add_f32 v[10:11], v[10:11], v[18:19]
	v_pk_add_f32 v[8:9], v[8:9], v[16:17]
	ds_read_b128 v[16:19], v143 offset:12288
	s_waitcnt lgkmcnt(5)
	ds_bpermute_b32 v20, v138, v12
	ds_bpermute_b32 v21, v138, v13
	;; [unrolled: 1-line block ×4, first 2 shown]
	v_cndmask_b32_e64 v119, -v119, v119, s[64:65]
	v_cndmask_b32_e64 v118, -v118, v118, s[64:65]
	;; [unrolled: 1-line block ×8, first 2 shown]
	s_waitcnt lgkmcnt(5)
	v_pk_add_f32 v[120:121], v[120:121], v[130:131]
	v_pk_add_f32 v[0:1], v[118:119], v[0:1]
	s_waitcnt lgkmcnt(0)
	v_pk_add_f32 v[14:15], v[14:15], v[22:23]
	v_pk_add_f32 v[12:13], v[12:13], v[20:21]
	ds_bpermute_b32 v118, v139, v0
	ds_bpermute_b32 v119, v139, v1
	ds_bpermute_b32 v130, v139, v120
	ds_bpermute_b32 v131, v139, v121
	ds_bpermute_b32 v20, v139, v12
	ds_bpermute_b32 v21, v139, v13
	ds_bpermute_b32 v22, v139, v14
	ds_bpermute_b32 v23, v139, v15
	v_cndmask_b32_e64 v1, -v1, v1, s[66:67]
	v_cndmask_b32_e64 v0, -v0, v0, s[66:67]
	;; [unrolled: 1-line block ×8, first 2 shown]
	s_waitcnt lgkmcnt(4)
	v_pk_add_f32 v[120:121], v[120:121], v[130:131]
	v_pk_add_f32 v[118:119], v[0:1], v[118:119]
	ds_bpermute_b32 v0, v138, v122
	ds_bpermute_b32 v1, v138, v123
	;; [unrolled: 1-line block ×4, first 2 shown]
	s_waitcnt lgkmcnt(4)
	v_pk_add_f32 v[14:15], v[14:15], v[22:23]
	v_pk_add_f32 v[12:13], v[12:13], v[20:21]
	ds_bpermute_b32 v20, v138, v16
	ds_bpermute_b32 v21, v138, v17
	;; [unrolled: 1-line block ×4, first 2 shown]
	v_cndmask_b32_e64 v123, -v123, v123, s[64:65]
	v_cndmask_b32_e64 v122, -v122, v122, s[64:65]
	;; [unrolled: 1-line block ×8, first 2 shown]
	s_waitcnt lgkmcnt(4)
	v_pk_add_f32 v[124:125], v[124:125], v[130:131]
	v_pk_add_f32 v[0:1], v[122:123], v[0:1]
	s_waitcnt lgkmcnt(0)
	v_pk_add_f32 v[18:19], v[18:19], v[22:23]
	v_pk_add_f32 v[16:17], v[16:17], v[20:21]
	ds_bpermute_b32 v122, v139, v0
	ds_bpermute_b32 v123, v139, v1
	;; [unrolled: 1-line block ×8, first 2 shown]
	ds_read_b128 v[20:23], v143 offset:16384
	v_cndmask_b32_e64 v1, -v1, v1, s[66:67]
	v_cndmask_b32_e64 v0, -v0, v0, s[66:67]
	;; [unrolled: 1-line block ×8, first 2 shown]
	s_waitcnt lgkmcnt(5)
	v_pk_add_f32 v[124:125], v[124:125], v[130:131]
	v_pk_add_f32 v[122:123], v[0:1], v[122:123]
	ds_bpermute_b32 v0, v138, v126
	ds_bpermute_b32 v1, v138, v127
	;; [unrolled: 1-line block ×4, first 2 shown]
	s_waitcnt lgkmcnt(5)
	v_pk_add_f32 v[18:19], v[18:19], v[26:27]
	v_pk_add_f32 v[16:17], v[16:17], v[24:25]
	ds_read_b128 v[24:27], v143 offset:20480
	s_waitcnt lgkmcnt(5)
	ds_bpermute_b32 v28, v138, v20
	ds_bpermute_b32 v29, v138, v21
	;; [unrolled: 1-line block ×4, first 2 shown]
	v_cndmask_b32_e64 v127, -v127, v127, s[64:65]
	v_cndmask_b32_e64 v126, -v126, v126, s[64:65]
	;; [unrolled: 1-line block ×8, first 2 shown]
	s_waitcnt lgkmcnt(5)
	v_pk_add_f32 v[128:129], v[128:129], v[130:131]
	v_pk_add_f32 v[0:1], v[126:127], v[0:1]
	s_waitcnt lgkmcnt(0)
	v_pk_add_f32 v[22:23], v[22:23], v[30:31]
	v_pk_add_f32 v[20:21], v[20:21], v[28:29]
	ds_bpermute_b32 v126, v139, v0
	ds_bpermute_b32 v127, v139, v1
	;; [unrolled: 1-line block ×8, first 2 shown]
	v_cndmask_b32_e64 v1, -v1, v1, s[66:67]
	v_cndmask_b32_e64 v0, -v0, v0, s[66:67]
	;; [unrolled: 1-line block ×8, first 2 shown]
	s_waitcnt lgkmcnt(4)
	v_pk_add_f32 v[2:3], v[128:129], v[130:131]
	v_pk_add_f32 v[0:1], v[0:1], v[126:127]
	s_waitcnt lgkmcnt(0)
	v_pk_add_f32 v[128:129], v[22:23], v[30:31]
	v_pk_add_f32 v[126:127], v[20:21], v[28:29]
	ds_bpermute_b32 v20, v138, v24
	ds_bpermute_b32 v21, v138, v25
	;; [unrolled: 1-line block ×4, first 2 shown]
	v_cndmask_b32_e64 v25, -v25, v25, s[64:65]
	v_cndmask_b32_e64 v24, -v24, v24, s[64:65]
	v_cndmask_b32_e64 v27, -v27, v27, s[64:65]
	v_cndmask_b32_e64 v26, -v26, v26, s[64:65]
	s_waitcnt lgkmcnt(0)
	v_pk_add_f32 v[26:27], v[26:27], v[22:23]
	v_pk_add_f32 v[20:21], v[24:25], v[20:21]
	ds_bpermute_b32 v24, v139, v20
	ds_bpermute_b32 v25, v139, v21
	;; [unrolled: 1-line block ×4, first 2 shown]
	v_cndmask_b32_e64 v31, -v21, v21, s[66:67]
	v_cndmask_b32_e64 v30, -v20, v20, s[66:67]
	ds_read_b128 v[20:23], v143 offset:24576
	v_cndmask_b32_e64 v27, -v27, v27, s[66:67]
	v_cndmask_b32_e64 v26, -v26, v26, s[66:67]
	s_waitcnt lgkmcnt(1)
	v_pk_add_f32 v[132:133], v[26:27], v[28:29]
	v_pk_add_f32 v[130:131], v[30:31], v[24:25]
	ds_read_b128 v[24:27], v143 offset:28672
	s_waitcnt lgkmcnt(1)
	ds_bpermute_b32 v28, v138, v20
	ds_bpermute_b32 v29, v138, v21
	ds_bpermute_b32 v30, v138, v22
	ds_bpermute_b32 v31, v138, v23
	v_cndmask_b32_e64 v21, -v21, v21, s[64:65]
	v_cndmask_b32_e64 v20, -v20, v20, s[64:65]
	v_cndmask_b32_e64 v23, -v23, v23, s[64:65]
	v_cndmask_b32_e64 v22, -v22, v22, s[64:65]
	s_waitcnt lgkmcnt(0)
	v_pk_add_f32 v[22:23], v[22:23], v[30:31]
	v_pk_add_f32 v[20:21], v[20:21], v[28:29]
	ds_bpermute_b32 v28, v139, v20
	ds_bpermute_b32 v29, v139, v21
	ds_bpermute_b32 v30, v139, v22
	ds_bpermute_b32 v31, v139, v23
	v_cndmask_b32_e64 v21, -v21, v21, s[66:67]
	v_cndmask_b32_e64 v20, -v20, v20, s[66:67]
	v_cndmask_b32_e64 v23, -v23, v23, s[66:67]
	v_cndmask_b32_e64 v22, -v22, v22, s[66:67]
	s_waitcnt lgkmcnt(0)
	v_pk_add_f32 v[136:137], v[22:23], v[30:31]
	v_pk_add_f32 v[134:135], v[20:21], v[28:29]
	ds_bpermute_b32 v20, v138, v24
	ds_bpermute_b32 v21, v138, v25
	ds_bpermute_b32 v22, v138, v26
	ds_bpermute_b32 v23, v138, v27
	v_cndmask_b32_e64 v25, -v25, v25, s[64:65]
	v_cndmask_b32_e64 v24, -v24, v24, s[64:65]
	v_cndmask_b32_e64 v27, -v27, v27, s[64:65]
	v_cndmask_b32_e64 v26, -v26, v26, s[64:65]
	s_waitcnt lgkmcnt(0)
	v_pk_add_f32 v[22:23], v[26:27], v[22:23]
	v_pk_add_f32 v[20:21], v[24:25], v[20:21]
	ds_bpermute_b32 v24, v139, v20
	ds_bpermute_b32 v25, v139, v21
	ds_bpermute_b32 v26, v139, v22
	ds_bpermute_b32 v27, v139, v23
	v_cndmask_b32_e64 v21, -v21, v21, s[66:67]
	v_cndmask_b32_e64 v20, -v20, v20, s[66:67]
	v_cndmask_b32_e64 v23, -v23, v23, s[66:67]
	v_cndmask_b32_e64 v22, -v22, v22, s[66:67]
	s_waitcnt lgkmcnt(0)
	v_pk_add_f32 v[140:141], v[22:23], v[26:27]
	v_pk_add_f32 v[138:139], v[20:21], v[24:25]
	s_barrier
	ds_write_b128 v143, v[38:41]
	ds_write_b128 v143, v[42:45] offset:4096
	ds_write_b128 v143, v[50:53] offset:8192
	ds_write_b128 v143, v[58:61] offset:12288
	ds_write_b128 v143, v[66:69] offset:16384
	ds_write_b128 v143, v[74:77] offset:20480
	ds_write_b128 v143, v[82:85] offset:24576
	ds_write_b128 v143, v[94:97] offset:28672
	s_waitcnt lgkmcnt(0)
	s_barrier
	ds_read_b128 v[20:23], v142
	ds_read_b128 v[24:27], v142 offset:4096
	ds_read_b128 v[28:31], v142 offset:8192
	ds_read_b128 v[38:41], v142 offset:12288
	ds_read_b128 v[42:45], v142 offset:16384
	ds_read_b128 v[50:53], v142 offset:20480
	ds_read_b128 v[58:61], v142 offset:24576
	ds_read_b128 v[66:69], v142 offset:28672
	s_waitcnt lgkmcnt(0)
	s_barrier
	ds_write_b128 v143, v[46:49]
	ds_write_b128 v143, v[54:57] offset:4096
	ds_write_b128 v143, v[62:65] offset:8192
	ds_write_b128 v143, v[70:73] offset:12288
	ds_write_b128 v143, v[78:81] offset:16384
	ds_write_b128 v143, v[86:89] offset:20480
	ds_write_b128 v143, v[98:101] offset:24576
	ds_write_b128 v143, v[102:105] offset:28672
	s_waitcnt lgkmcnt(0)
	s_barrier
	ds_read_b128 v[46:49], v142
	ds_read_b128 v[54:57], v142 offset:4096
	ds_read_b128 v[62:65], v142 offset:8192
	ds_read_b128 v[70:73], v142 offset:12288
	ds_read_b128 v[74:77], v142 offset:16384
	ds_read_b128 v[78:81], v142 offset:20480
	ds_read_b128 v[82:85], v142 offset:24576
	ds_read_b128 v[86:89], v142 offset:28672
	s_waitcnt lgkmcnt(0)
	;; [unrolled: 20-line block ×3, first 2 shown]
	s_barrier
	ds_write_b128 v143, v[4:7]
	ds_write_b128 v143, v[8:11] offset:4096
	ds_write_b128 v143, v[12:15] offset:8192
	;; [unrolled: 1-line block ×7, first 2 shown]
	s_waitcnt lgkmcnt(0)
	s_barrier
	ds_read_b128 v[4:7], v142
	ds_read_b128 v[8:11], v142 offset:4096
	ds_read_b128 v[12:15], v142 offset:8192
	;; [unrolled: 1-line block ×7, first 2 shown]
	v_pk_add_f32 v[206:207], v[20:21], v[24:25]
	v_pk_add_f32 v[208:209], v[28:29], v[38:39]
	;; [unrolled: 1-line block ×17, first 2 shown]
	s_waitcnt lgkmcnt(6)
	v_pk_add_f32 v[230:231], v[4:5], v[8:9]
	s_waitcnt lgkmcnt(4)
	v_pk_add_f32 v[232:233], v[12:13], v[16:17]
	s_waitcnt lgkmcnt(2)
	v_pk_add_f32 v[234:235], v[114:115], v[118:119]
	s_waitcnt lgkmcnt(0)
	v_pk_add_f32 v[238:239], v[122:123], v[126:127]
	v_pk_add_f32 v[130:131], v[194:195], v[196:197]
	v_accvgpr_write_b32 a63, v37
	v_pk_add_f32 v[198:199], v[222:223], v[224:225]
	v_pk_add_f32 v[200:201], v[226:227], v[228:229]
	;; [unrolled: 1-line block ×4, first 2 shown]
	v_accvgpr_write_b32 a62, v36
	v_pk_add_f32 v[36:37], v[36:37], v[130:131]
	v_pk_add_f32 v[132:133], v[198:199], v[200:201]
	;; [unrolled: 1-line block ×3, first 2 shown]
	v_accvgpr_write_b32 a51, v37
	v_pk_add_f32 v[254:255], v[22:23], v[26:27]
	v_pk_add_f32 v[178:179], v[30:31], v[40:41]
	;; [unrolled: 1-line block ×8, first 2 shown]
	v_accvgpr_write_b32 a50, v36
	v_pk_add_f32 v[36:37], v[132:133], v[134:135]
	v_pk_add_f32 v[236:237], v[254:255], v[178:179]
	;; [unrolled: 1-line block ×5, first 2 shown]
	s_mul_hi_u32 s1, s78, s2
	v_accvgpr_write_b32 a53, v37
	v_pk_add_f32 v[154:155], v[2:3], v[34:35]
	v_pk_add_f32 v[156:157], v[92:93], v[96:97]
	;; [unrolled: 1-line block ×10, first 2 shown]
	s_add_i32 s0, s1, s0
	s_mul_i32 s1, s79, s2
	v_accvgpr_write_b32 a52, v36
	v_pk_add_f32 v[246:247], v[154:155], v[156:157]
	v_pk_add_f32 v[248:249], v[158:159], v[160:161]
	;; [unrolled: 1-line block ×5, first 2 shown]
	s_add_i32 s1, s0, s1
	s_mul_i32 s0, s78, s2
	v_pk_add_f32 v[186:187], v[246:247], v[248:249]
	v_pk_add_f32 v[188:189], v[250:251], v[252:253]
	v_accvgpr_write_b32 a55, v37
	s_lshl_b64 s[0:1], s[0:1], 2
	v_accvgpr_write_b32 a54, v36
	v_pk_add_f32 v[36:37], v[186:187], v[188:189]
	s_add_u32 s0, s74, s0
	v_accvgpr_write_b32 a64, v130
	v_accvgpr_write_b32 a66, v132
	;; [unrolled: 1-line block ×4, first 2 shown]
	s_addc_u32 s1, s75, s1
	v_accvgpr_write_b32 a65, v131
	v_accvgpr_write_b32 a67, v133
	;; [unrolled: 1-line block ×4, first 2 shown]
	s_and_saveexec_b64 s[2:3], s[28:29]
	s_cbranch_execz .LBB12_66
; %bb.65:
	v_accvgpr_read_b32 v36, a50
	v_accvgpr_read_b32 v131, a53
	;; [unrolled: 1-line block ×4, first 2 shown]
	v_pk_add_f32 v[36:37], v[36:37], v[130:131]
	v_accvgpr_read_b32 v133, a57
	v_pk_mul_f32 v[130:131], s[72:73], v[36:37]
	v_accvgpr_read_b32 v36, a54
	v_accvgpr_read_b32 v37, a55
	v_accvgpr_read_b32 v132, a56
	v_pk_add_f32 v[36:37], v[36:37], v[132:133]
	s_nop 0
	v_pk_mul_f32 v[132:133], s[72:73], v[36:37]
	global_store_dwordx4 v170, v[130:133], s[0:1]
.LBB12_66:
	s_or_b64 exec, exec, s[2:3]
	v_pk_add_f32 v[20:21], v[20:21], v[24:25] neg_lo:[0,1] neg_hi:[0,1]
	v_pk_add_f32 v[24:25], v[28:29], v[38:39] neg_lo:[0,1] neg_hi:[0,1]
	;; [unrolled: 1-line block ×12, first 2 shown]
	v_pk_add_f32 v[32:33], v[20:21], v[24:25]
	v_pk_add_f32 v[34:35], v[28:29], v[170:171]
	;; [unrolled: 1-line block ×4, first 2 shown]
	v_pk_add_f32 v[176:177], v[48:49], v[56:57] neg_lo:[0,1] neg_hi:[0,1]
	v_pk_add_f32 v[140:141], v[90:91], v[94:95] neg_lo:[0,1] neg_hi:[0,1]
	;; [unrolled: 1-line block ×8, first 2 shown]
	v_pk_add_f32 v[54:55], v[32:33], v[34:35]
	v_pk_add_f32 v[56:57], v[38:39], v[40:41]
	v_pk_add_f32 v[30:31], v[44:45], v[52:53] neg_lo:[0,1] neg_hi:[0,1]
	v_pk_add_f32 v[42:43], v[0:1], v[140:141]
	v_pk_add_f32 v[44:45], v[102:103], v[106:107]
	;; [unrolled: 1-line block ×5, first 2 shown]
	v_pk_add_f32 v[172:173], v[60:61], v[68:69] neg_lo:[0,1] neg_hi:[0,1]
	v_pk_add_f32 v[130:131], v[64:65], v[72:73] neg_lo:[0,1] neg_hi:[0,1]
	;; [unrolled: 1-line block ×11, first 2 shown]
	v_pk_add_f32 v[58:59], v[42:43], v[44:45]
	v_pk_add_f32 v[60:61], v[46:47], v[48:49]
	v_accvgpr_write_b32 a59, v5
	v_accvgpr_write_b32 a58, v4
	v_pk_add_f32 v[4:5], v[58:59], v[60:61]
	v_pk_add_f32 v[50:51], v[22:23], v[26:27]
	;; [unrolled: 1-line block ×9, first 2 shown]
	v_accvgpr_write_b32 a61, v5
	v_pk_add_f32 v[62:63], v[50:51], v[52:53]
	v_pk_add_f32 v[74:75], v[64:65], v[66:67]
	;; [unrolled: 1-line block ×4, first 2 shown]
	v_accvgpr_write_b32 a60, v4
	v_pk_add_f32 v[4:5], v[62:63], v[74:75]
	v_pk_add_f32 v[6:7], v[76:77], v[78:79]
	s_and_saveexec_b64 s[2:3], s[16:17]
	s_cbranch_execz .LBB12_68
; %bb.67:
	v_accvgpr_read_b32 v8, a58
	v_accvgpr_read_b32 v10, a60
	;; [unrolled: 1-line block ×4, first 2 shown]
	v_pk_add_f32 v[8:9], v[8:9], v[10:11]
	v_pk_add_f32 v[10:11], v[4:5], v[6:7]
	v_pk_mul_f32 v[8:9], s[72:73], v[8:9]
	v_pk_mul_f32 v[10:11], s[72:73], v[10:11]
	v_accvgpr_read_b32 v12, a9
	global_store_dwordx4 v12, v[8:11], s[0:1]
.LBB12_68:
	s_or_b64 exec, exec, s[2:3]
	v_pk_add_f32 v[94:95], v[206:207], v[208:209] neg_lo:[0,1] neg_hi:[0,1]
	v_pk_add_f32 v[96:97], v[210:211], v[212:213] neg_lo:[0,1] neg_hi:[0,1]
	;; [unrolled: 1-line block ×16, first 2 shown]
	v_pk_add_f32 v[80:81], v[94:95], v[96:97]
	v_pk_add_f32 v[82:83], v[210:211], v[212:213]
	;; [unrolled: 1-line block ×12, first 2 shown]
	s_and_saveexec_b64 s[2:3], s[10:11]
	s_cbranch_execz .LBB12_70
; %bb.69:
	v_pk_add_f32 v[122:123], v[8:9], v[10:11]
	v_pk_add_f32 v[124:125], v[12:13], v[14:15]
	v_pk_mul_f32 v[122:123], s[72:73], v[122:123]
	v_pk_mul_f32 v[124:125], s[72:73], v[124:125]
	v_accvgpr_read_b32 v126, a6
	global_store_dwordx4 v126, v[122:125], s[0:1]
.LBB12_70:
	s_or_b64 exec, exec, s[2:3]
	v_pk_add_f32 v[146:147], v[20:21], v[24:25] neg_lo:[0,1] neg_hi:[0,1]
	v_pk_add_f32 v[148:149], v[28:29], v[170:171] neg_lo:[0,1] neg_hi:[0,1]
	;; [unrolled: 1-line block ×16, first 2 shown]
	v_pk_add_f32 v[102:103], v[146:147], v[148:149]
	v_pk_add_f32 v[104:105], v[154:155], v[158:159]
	;; [unrolled: 1-line block ×12, first 2 shown]
	s_and_saveexec_b64 s[2:3], vcc
	s_cbranch_execz .LBB12_72
; %bb.71:
	v_pk_add_f32 v[0:1], v[16:17], v[18:19]
	v_pk_add_f32 v[2:3], v[20:21], v[22:23]
	v_pk_mul_f32 v[0:1], s[72:73], v[0:1]
	v_pk_mul_f32 v[2:3], s[72:73], v[2:3]
	v_accvgpr_read_b32 v24, a0
	global_store_dwordx4 v24, v[0:3], s[0:1]
.LBB12_72:
	s_or_b64 exec, exec, s[2:3]
	v_pk_add_f32 v[118:119], v[190:191], v[192:193] neg_lo:[0,1] neg_hi:[0,1]
	v_pk_add_f32 v[120:121], v[194:195], v[196:197] neg_lo:[0,1] neg_hi:[0,1]
	v_pk_add_f32 v[122:123], v[198:199], v[200:201] neg_lo:[0,1] neg_hi:[0,1]
	v_pk_add_f32 v[124:125], v[202:203], v[204:205] neg_lo:[0,1] neg_hi:[0,1]
	v_pk_add_f32 v[126:127], v[236:237], v[240:241] neg_lo:[0,1] neg_hi:[0,1]
	v_pk_add_f32 v[128:129], v[242:243], v[244:245] neg_lo:[0,1] neg_hi:[0,1]
	v_pk_add_f32 v[190:191], v[246:247], v[248:249] neg_lo:[0,1] neg_hi:[0,1]
	v_pk_add_f32 v[192:193], v[250:251], v[252:253] neg_lo:[0,1] neg_hi:[0,1]
	v_pk_add_f32 v[24:25], v[118:119], v[120:121]
	v_pk_add_f32 v[26:27], v[122:123], v[124:125]
	v_pk_add_f32 v[28:29], v[126:127], v[128:129]
	v_pk_add_f32 v[30:31], v[190:191], v[192:193]
	s_and_saveexec_b64 s[2:3], s[68:69]
	s_cbranch_execz .LBB12_74
; %bb.73:
	v_pk_add_f32 v[0:1], v[24:25], v[26:27]
	v_pk_add_f32 v[2:3], v[28:29], v[30:31]
	v_pk_mul_f32 v[0:1], s[72:73], v[0:1]
	v_pk_mul_f32 v[2:3], s[72:73], v[2:3]
	v_accvgpr_read_b32 v36, a2
	global_store_dwordx4 v36, v[0:3], s[0:1]
.LBB12_74:
	s_or_b64 exec, exec, s[2:3]
	v_pk_add_f32 v[194:195], v[32:33], v[34:35] neg_lo:[0,1] neg_hi:[0,1]
	v_pk_add_f32 v[196:197], v[38:39], v[40:41] neg_lo:[0,1] neg_hi:[0,1]
	v_pk_add_f32 v[198:199], v[42:43], v[44:45] neg_lo:[0,1] neg_hi:[0,1]
	v_pk_add_f32 v[200:201], v[46:47], v[48:49] neg_lo:[0,1] neg_hi:[0,1]
	v_pk_add_f32 v[202:203], v[50:51], v[52:53] neg_lo:[0,1] neg_hi:[0,1]
	v_pk_add_f32 v[206:207], v[64:65], v[66:67] neg_lo:[0,1] neg_hi:[0,1]
	v_pk_add_f32 v[208:209], v[68:69], v[70:71] neg_lo:[0,1] neg_hi:[0,1]
	v_pk_add_f32 v[214:215], v[72:73], v[92:93] neg_lo:[0,1] neg_hi:[0,1]
	v_pk_add_f32 v[32:33], v[194:195], v[196:197]
	v_pk_add_f32 v[34:35], v[198:199], v[200:201]
	v_pk_add_f32 v[38:39], v[202:203], v[206:207]
	v_pk_add_f32 v[40:41], v[208:209], v[214:215]
	s_and_saveexec_b64 s[2:3], s[70:71]
	;; [unrolled: 23-line block ×4, first 2 shown]
	s_cbranch_execz .LBB12_80
; %bb.79:
	v_pk_add_f32 v[0:1], v[50:51], v[64:65]
	v_pk_add_f32 v[2:3], v[66:67], v[92:93]
	v_pk_mul_f32 v[0:1], s[72:73], v[0:1]
	v_pk_mul_f32 v[2:3], s[72:73], v[2:3]
	v_accvgpr_read_b32 v36, a3
	global_store_dwordx4 v36, v[0:3], s[0:1]
.LBB12_80:
	s_or_b64 exec, exec, s[2:3]
	s_nop 0
	v_accvgpr_read_b32 v0, a62
	v_accvgpr_read_b32 v2, a64
	;; [unrolled: 1-line block ×4, first 2 shown]
	v_pk_add_f32 v[52:53], v[0:1], v[2:3] neg_lo:[0,1] neg_hi:[0,1]
	v_accvgpr_read_b32 v0, a66
	v_accvgpr_read_b32 v2, a68
	;; [unrolled: 1-line block ×4, first 2 shown]
	v_pk_add_f32 v[68:69], v[0:1], v[2:3] neg_lo:[0,1] neg_hi:[0,1]
	v_pk_add_f32 v[70:71], v[182:183], v[184:185] neg_lo:[0,1] neg_hi:[0,1]
	v_pk_add_f32 v[94:95], v[186:187], v[188:189] neg_lo:[0,1] neg_hi:[0,1]
	s_and_saveexec_b64 s[2:3], s[8:9]
	s_cbranch_execz .LBB12_82
; %bb.81:
	v_pk_add_f32 v[0:1], v[52:53], v[68:69]
	v_pk_add_f32 v[2:3], v[70:71], v[94:95]
	v_pk_mul_f32 v[0:1], s[72:73], v[0:1]
	v_pk_mul_f32 v[2:3], s[72:73], v[2:3]
	v_accvgpr_read_b32 v36, a5
	global_store_dwordx4 v36, v[0:3], s[0:1]
.LBB12_82:
	s_or_b64 exec, exec, s[2:3]
	v_pk_add_f32 v[54:55], v[54:55], v[56:57] neg_lo:[0,1] neg_hi:[0,1]
	v_pk_add_f32 v[72:73], v[58:59], v[60:61] neg_lo:[0,1] neg_hi:[0,1]
	v_pk_add_f32 v[74:75], v[62:63], v[74:75] neg_lo:[0,1] neg_hi:[0,1]
	v_pk_add_f32 v[96:97], v[76:77], v[78:79] neg_lo:[0,1] neg_hi:[0,1]
	s_and_saveexec_b64 s[2:3], s[12:13]
	s_cbranch_execz .LBB12_84
; %bb.83:
	v_pk_add_f32 v[0:1], v[54:55], v[72:73]
	v_pk_add_f32 v[2:3], v[74:75], v[96:97]
	v_pk_mul_f32 v[0:1], s[72:73], v[0:1]
	v_pk_mul_f32 v[2:3], s[72:73], v[2:3]
	v_accvgpr_read_b32 v36, a7
	global_store_dwordx4 v36, v[0:3], s[0:1]
.LBB12_84:
	s_or_b64 exec, exec, s[2:3]
	v_pk_add_f32 v[56:57], v[80:81], v[82:83] neg_lo:[0,1] neg_hi:[0,1]
	;; [unrolled: 15-line block ×5, first 2 shown]
	v_pk_add_f32 v[88:89], v[198:199], v[200:201] neg_lo:[0,1] neg_hi:[0,1]
	v_pk_add_f32 v[90:91], v[202:203], v[206:207] neg_lo:[0,1] neg_hi:[0,1]
	;; [unrolled: 1-line block ×3, first 2 shown]
	s_and_saveexec_b64 s[2:3], s[22:23]
	s_cbranch_execz .LBB12_92
; %bb.91:
	v_pk_add_f32 v[0:1], v[62:63], v[88:89]
	v_pk_add_f32 v[2:3], v[90:91], v[104:105]
	v_accvgpr_read_b32 v36, a12
	v_mov_b32_e32 v37, 0
	v_pk_mul_f32 v[0:1], s[72:73], v[0:1]
	v_pk_mul_f32 v[2:3], s[72:73], v[2:3]
	v_lshl_add_u64 v[36:37], v[36:37], 4, s[0:1]
	global_store_dwordx4 v[36:37], v[0:3], off
.LBB12_92:
	s_or_b64 exec, exec, s[2:3]
	v_pk_add_f32 v[106:107], v[204:205], v[210:211] neg_lo:[0,1] neg_hi:[0,1]
	v_pk_add_f32 v[108:109], v[212:213], v[216:217] neg_lo:[0,1] neg_hi:[0,1]
	;; [unrolled: 1-line block ×4, first 2 shown]
	s_and_saveexec_b64 s[2:3], s[24:25]
	s_cbranch_execz .LBB12_94
; %bb.93:
	v_pk_add_f32 v[0:1], v[106:107], v[108:109]
	v_pk_add_f32 v[2:3], v[110:111], v[112:113]
	v_accvgpr_read_b32 v36, a14
	v_mov_b32_e32 v37, 0
	v_pk_mul_f32 v[0:1], s[72:73], v[0:1]
	v_pk_mul_f32 v[2:3], s[72:73], v[2:3]
	v_lshl_add_u64 v[36:37], v[36:37], 4, s[0:1]
	global_store_dwordx4 v[36:37], v[0:3], off
.LBB12_94:
	s_or_b64 exec, exec, s[2:3]
	v_pk_add_f32 v[114:115], v[220:221], v[230:231] neg_lo:[0,1] neg_hi:[0,1]
	v_pk_add_f32 v[116:117], v[222:223], v[232:233] neg_lo:[0,1] neg_hi:[0,1]
	;; [unrolled: 1-line block ×4, first 2 shown]
	s_and_saveexec_b64 s[2:3], s[26:27]
	s_cbranch_execnz .LBB12_112
; %bb.95:
	s_or_b64 exec, exec, s[2:3]
	s_and_saveexec_b64 s[2:3], s[30:31]
	s_cbranch_execnz .LBB12_113
.LBB12_96:
	s_or_b64 exec, exec, s[2:3]
	s_and_saveexec_b64 s[2:3], s[34:35]
	s_cbranch_execnz .LBB12_114
.LBB12_97:
	s_or_b64 exec, exec, s[2:3]
	s_and_saveexec_b64 s[2:3], s[36:37]
	s_cbranch_execnz .LBB12_115
.LBB12_98:
	s_or_b64 exec, exec, s[2:3]
	s_and_saveexec_b64 s[2:3], s[38:39]
	s_cbranch_execnz .LBB12_116
.LBB12_99:
	s_or_b64 exec, exec, s[2:3]
	s_and_saveexec_b64 s[2:3], s[40:41]
	s_cbranch_execnz .LBB12_117
.LBB12_100:
	s_or_b64 exec, exec, s[2:3]
	s_and_saveexec_b64 s[2:3], s[42:43]
	s_cbranch_execnz .LBB12_118
.LBB12_101:
	s_or_b64 exec, exec, s[2:3]
	s_and_saveexec_b64 s[2:3], s[44:45]
	s_cbranch_execnz .LBB12_119
.LBB12_102:
	s_or_b64 exec, exec, s[2:3]
	s_and_saveexec_b64 s[2:3], s[46:47]
	s_cbranch_execnz .LBB12_120
.LBB12_103:
	s_or_b64 exec, exec, s[2:3]
	s_and_saveexec_b64 s[2:3], s[48:49]
	s_cbranch_execnz .LBB12_121
.LBB12_104:
	s_or_b64 exec, exec, s[2:3]
	s_and_saveexec_b64 s[2:3], s[50:51]
	s_cbranch_execnz .LBB12_122
.LBB12_105:
	s_or_b64 exec, exec, s[2:3]
	s_and_saveexec_b64 s[2:3], s[52:53]
	s_cbranch_execnz .LBB12_123
.LBB12_106:
	s_or_b64 exec, exec, s[2:3]
	s_and_saveexec_b64 s[2:3], s[54:55]
	s_cbranch_execnz .LBB12_124
.LBB12_107:
	s_or_b64 exec, exec, s[2:3]
	s_and_saveexec_b64 s[2:3], s[56:57]
	s_cbranch_execnz .LBB12_125
.LBB12_108:
	s_or_b64 exec, exec, s[2:3]
	s_and_saveexec_b64 s[2:3], s[58:59]
	s_cbranch_execnz .LBB12_126
.LBB12_109:
	s_or_b64 exec, exec, s[2:3]
	s_and_saveexec_b64 s[2:3], s[60:61]
	s_cbranch_execnz .LBB12_127
.LBB12_110:
	s_or_b64 exec, exec, s[2:3]
	s_and_saveexec_b64 s[2:3], s[62:63]
	s_cbranch_execnz .LBB12_128
.LBB12_111:
	s_endpgm
.LBB12_112:
	v_pk_add_f32 v[0:1], v[114:115], v[118:119]
	v_pk_add_f32 v[2:3], v[116:117], v[120:121]
	v_accvgpr_read_b32 v36, a16
	v_mov_b32_e32 v37, 0
	v_pk_mul_f32 v[0:1], s[72:73], v[0:1]
	v_pk_mul_f32 v[2:3], s[72:73], v[2:3]
	v_lshl_add_u64 v[36:37], v[36:37], 4, s[0:1]
	global_store_dwordx4 v[36:37], v[0:3], off
	s_or_b64 exec, exec, s[2:3]
	s_and_saveexec_b64 s[2:3], s[30:31]
	s_cbranch_execz .LBB12_96
.LBB12_113:
	v_accvgpr_read_b32 v0, a50
	v_accvgpr_read_b32 v2, a52
	;; [unrolled: 1-line block ×4, first 2 shown]
	v_pk_add_f32 v[0:1], v[0:1], v[2:3] neg_lo:[0,1] neg_hi:[0,1]
	v_accvgpr_read_b32 v2, a54
	v_accvgpr_read_b32 v36, a56
	;; [unrolled: 1-line block ×4, first 2 shown]
	v_pk_add_f32 v[2:3], v[2:3], v[36:37] neg_lo:[0,1] neg_hi:[0,1]
	v_accvgpr_read_b32 v36, a18
	v_mov_b32_e32 v37, 0
	v_pk_mul_f32 v[0:1], s[72:73], v[0:1]
	v_pk_mul_f32 v[2:3], s[72:73], v[2:3]
	v_lshl_add_u64 v[36:37], v[36:37], 4, s[0:1]
	global_store_dwordx4 v[36:37], v[0:3], off
	s_or_b64 exec, exec, s[2:3]
	s_and_saveexec_b64 s[2:3], s[34:35]
	s_cbranch_execz .LBB12_97
.LBB12_114:
	v_accvgpr_read_b32 v0, a58
	v_accvgpr_read_b32 v2, a60
	;; [unrolled: 1-line block ×4, first 2 shown]
	v_pk_add_f32 v[0:1], v[0:1], v[2:3] neg_lo:[0,1] neg_hi:[0,1]
	v_pk_add_f32 v[2:3], v[4:5], v[6:7] neg_lo:[0,1] neg_hi:[0,1]
	v_accvgpr_read_b32 v4, a20
	v_mov_b32_e32 v5, 0
	v_pk_mul_f32 v[0:1], s[72:73], v[0:1]
	v_pk_mul_f32 v[2:3], s[72:73], v[2:3]
	v_lshl_add_u64 v[4:5], v[4:5], 4, s[0:1]
	global_store_dwordx4 v[4:5], v[0:3], off
	s_or_b64 exec, exec, s[2:3]
	s_and_saveexec_b64 s[2:3], s[36:37]
	s_cbranch_execz .LBB12_98
.LBB12_115:
	v_pk_add_f32 v[0:1], v[8:9], v[10:11] neg_lo:[0,1] neg_hi:[0,1]
	v_pk_add_f32 v[2:3], v[12:13], v[14:15] neg_lo:[0,1] neg_hi:[0,1]
	v_accvgpr_read_b32 v4, a22
	v_mov_b32_e32 v5, 0
	v_pk_mul_f32 v[0:1], s[72:73], v[0:1]
	v_pk_mul_f32 v[2:3], s[72:73], v[2:3]
	v_lshl_add_u64 v[4:5], v[4:5], 4, s[0:1]
	global_store_dwordx4 v[4:5], v[0:3], off
	s_or_b64 exec, exec, s[2:3]
	s_and_saveexec_b64 s[2:3], s[38:39]
	s_cbranch_execz .LBB12_99
.LBB12_116:
	v_pk_add_f32 v[0:1], v[16:17], v[18:19] neg_lo:[0,1] neg_hi:[0,1]
	v_pk_add_f32 v[2:3], v[20:21], v[22:23] neg_lo:[0,1] neg_hi:[0,1]
	v_accvgpr_read_b32 v4, a24
	v_mov_b32_e32 v5, 0
	v_pk_mul_f32 v[0:1], s[72:73], v[0:1]
	v_pk_mul_f32 v[2:3], s[72:73], v[2:3]
	v_lshl_add_u64 v[4:5], v[4:5], 4, s[0:1]
	global_store_dwordx4 v[4:5], v[0:3], off
	s_or_b64 exec, exec, s[2:3]
	s_and_saveexec_b64 s[2:3], s[40:41]
	s_cbranch_execz .LBB12_100
.LBB12_117:
	v_pk_add_f32 v[0:1], v[24:25], v[26:27] neg_lo:[0,1] neg_hi:[0,1]
	v_pk_add_f32 v[2:3], v[28:29], v[30:31] neg_lo:[0,1] neg_hi:[0,1]
	v_accvgpr_read_b32 v4, a26
	v_mov_b32_e32 v5, 0
	v_pk_mul_f32 v[0:1], s[72:73], v[0:1]
	v_pk_mul_f32 v[2:3], s[72:73], v[2:3]
	v_lshl_add_u64 v[4:5], v[4:5], 4, s[0:1]
	global_store_dwordx4 v[4:5], v[0:3], off
	s_or_b64 exec, exec, s[2:3]
	s_and_saveexec_b64 s[2:3], s[42:43]
	s_cbranch_execz .LBB12_101
.LBB12_118:
	v_pk_add_f32 v[0:1], v[32:33], v[34:35] neg_lo:[0,1] neg_hi:[0,1]
	v_pk_add_f32 v[2:3], v[38:39], v[40:41] neg_lo:[0,1] neg_hi:[0,1]
	v_accvgpr_read_b32 v4, a28
	v_mov_b32_e32 v5, 0
	v_pk_mul_f32 v[0:1], s[72:73], v[0:1]
	v_pk_mul_f32 v[2:3], s[72:73], v[2:3]
	v_lshl_add_u64 v[4:5], v[4:5], 4, s[0:1]
	global_store_dwordx4 v[4:5], v[0:3], off
	s_or_b64 exec, exec, s[2:3]
	s_and_saveexec_b64 s[2:3], s[44:45]
	s_cbranch_execz .LBB12_102
.LBB12_119:
	v_pk_add_f32 v[0:1], v[42:43], v[44:45] neg_lo:[0,1] neg_hi:[0,1]
	v_pk_add_f32 v[2:3], v[46:47], v[48:49] neg_lo:[0,1] neg_hi:[0,1]
	v_accvgpr_read_b32 v4, a30
	v_mov_b32_e32 v5, 0
	v_pk_mul_f32 v[0:1], s[72:73], v[0:1]
	v_pk_mul_f32 v[2:3], s[72:73], v[2:3]
	v_lshl_add_u64 v[4:5], v[4:5], 4, s[0:1]
	global_store_dwordx4 v[4:5], v[0:3], off
	s_or_b64 exec, exec, s[2:3]
	s_and_saveexec_b64 s[2:3], s[46:47]
	s_cbranch_execz .LBB12_103
.LBB12_120:
	v_pk_add_f32 v[0:1], v[50:51], v[64:65] neg_lo:[0,1] neg_hi:[0,1]
	v_pk_add_f32 v[2:3], v[66:67], v[92:93] neg_lo:[0,1] neg_hi:[0,1]
	v_accvgpr_read_b32 v4, a32
	v_mov_b32_e32 v5, 0
	v_pk_mul_f32 v[0:1], s[72:73], v[0:1]
	v_pk_mul_f32 v[2:3], s[72:73], v[2:3]
	v_lshl_add_u64 v[4:5], v[4:5], 4, s[0:1]
	global_store_dwordx4 v[4:5], v[0:3], off
	s_or_b64 exec, exec, s[2:3]
	s_and_saveexec_b64 s[2:3], s[48:49]
	s_cbranch_execz .LBB12_104
.LBB12_121:
	v_pk_add_f32 v[0:1], v[52:53], v[68:69] neg_lo:[0,1] neg_hi:[0,1]
	v_pk_add_f32 v[2:3], v[70:71], v[94:95] neg_lo:[0,1] neg_hi:[0,1]
	v_accvgpr_read_b32 v4, a34
	v_mov_b32_e32 v5, 0
	v_pk_mul_f32 v[0:1], s[72:73], v[0:1]
	v_pk_mul_f32 v[2:3], s[72:73], v[2:3]
	v_lshl_add_u64 v[4:5], v[4:5], 4, s[0:1]
	global_store_dwordx4 v[4:5], v[0:3], off
	s_or_b64 exec, exec, s[2:3]
	s_and_saveexec_b64 s[2:3], s[50:51]
	s_cbranch_execz .LBB12_105
.LBB12_122:
	v_pk_add_f32 v[0:1], v[54:55], v[72:73] neg_lo:[0,1] neg_hi:[0,1]
	v_pk_add_f32 v[2:3], v[74:75], v[96:97] neg_lo:[0,1] neg_hi:[0,1]
	v_accvgpr_read_b32 v4, a36
	v_mov_b32_e32 v5, 0
	v_pk_mul_f32 v[0:1], s[72:73], v[0:1]
	v_pk_mul_f32 v[2:3], s[72:73], v[2:3]
	v_lshl_add_u64 v[4:5], v[4:5], 4, s[0:1]
	global_store_dwordx4 v[4:5], v[0:3], off
	s_or_b64 exec, exec, s[2:3]
	s_and_saveexec_b64 s[2:3], s[52:53]
	s_cbranch_execz .LBB12_106
.LBB12_123:
	v_pk_add_f32 v[0:1], v[56:57], v[76:77] neg_lo:[0,1] neg_hi:[0,1]
	v_pk_add_f32 v[2:3], v[78:79], v[98:99] neg_lo:[0,1] neg_hi:[0,1]
	v_accvgpr_read_b32 v4, a38
	v_mov_b32_e32 v5, 0
	v_pk_mul_f32 v[0:1], s[72:73], v[0:1]
	v_pk_mul_f32 v[2:3], s[72:73], v[2:3]
	v_lshl_add_u64 v[4:5], v[4:5], 4, s[0:1]
	global_store_dwordx4 v[4:5], v[0:3], off
	s_or_b64 exec, exec, s[2:3]
	s_and_saveexec_b64 s[2:3], s[54:55]
	s_cbranch_execz .LBB12_107
.LBB12_124:
	v_pk_add_f32 v[0:1], v[58:59], v[80:81] neg_lo:[0,1] neg_hi:[0,1]
	v_pk_add_f32 v[2:3], v[82:83], v[100:101] neg_lo:[0,1] neg_hi:[0,1]
	v_accvgpr_read_b32 v4, a40
	v_mov_b32_e32 v5, 0
	v_pk_mul_f32 v[0:1], s[72:73], v[0:1]
	v_pk_mul_f32 v[2:3], s[72:73], v[2:3]
	v_lshl_add_u64 v[4:5], v[4:5], 4, s[0:1]
	global_store_dwordx4 v[4:5], v[0:3], off
	s_or_b64 exec, exec, s[2:3]
	s_and_saveexec_b64 s[2:3], s[56:57]
	s_cbranch_execz .LBB12_108
.LBB12_125:
	v_pk_add_f32 v[0:1], v[60:61], v[84:85] neg_lo:[0,1] neg_hi:[0,1]
	v_pk_add_f32 v[2:3], v[86:87], v[102:103] neg_lo:[0,1] neg_hi:[0,1]
	v_accvgpr_read_b32 v4, a42
	v_mov_b32_e32 v5, 0
	v_pk_mul_f32 v[0:1], s[72:73], v[0:1]
	v_pk_mul_f32 v[2:3], s[72:73], v[2:3]
	v_lshl_add_u64 v[4:5], v[4:5], 4, s[0:1]
	global_store_dwordx4 v[4:5], v[0:3], off
	s_or_b64 exec, exec, s[2:3]
	s_and_saveexec_b64 s[2:3], s[58:59]
	s_cbranch_execz .LBB12_109
.LBB12_126:
	v_pk_add_f32 v[0:1], v[62:63], v[88:89] neg_lo:[0,1] neg_hi:[0,1]
	v_pk_add_f32 v[2:3], v[90:91], v[104:105] neg_lo:[0,1] neg_hi:[0,1]
	v_accvgpr_read_b32 v4, a44
	v_mov_b32_e32 v5, 0
	v_pk_mul_f32 v[0:1], s[72:73], v[0:1]
	v_pk_mul_f32 v[2:3], s[72:73], v[2:3]
	v_lshl_add_u64 v[4:5], v[4:5], 4, s[0:1]
	global_store_dwordx4 v[4:5], v[0:3], off
	s_or_b64 exec, exec, s[2:3]
	s_and_saveexec_b64 s[2:3], s[60:61]
	s_cbranch_execz .LBB12_110
.LBB12_127:
	v_pk_add_f32 v[0:1], v[106:107], v[108:109] neg_lo:[0,1] neg_hi:[0,1]
	v_pk_add_f32 v[2:3], v[110:111], v[112:113] neg_lo:[0,1] neg_hi:[0,1]
	v_accvgpr_read_b32 v4, a46
	v_mov_b32_e32 v5, 0
	v_pk_mul_f32 v[0:1], s[72:73], v[0:1]
	v_pk_mul_f32 v[2:3], s[72:73], v[2:3]
	v_lshl_add_u64 v[4:5], v[4:5], 4, s[0:1]
	global_store_dwordx4 v[4:5], v[0:3], off
	s_or_b64 exec, exec, s[2:3]
	s_and_saveexec_b64 s[2:3], s[62:63]
	s_cbranch_execz .LBB12_111
.LBB12_128:
	v_pk_add_f32 v[0:1], v[114:115], v[118:119] neg_lo:[0,1] neg_hi:[0,1]
	v_pk_add_f32 v[2:3], v[116:117], v[120:121] neg_lo:[0,1] neg_hi:[0,1]
	v_accvgpr_read_b32 v4, a48
	v_mov_b32_e32 v5, 0
	v_pk_mul_f32 v[0:1], s[72:73], v[0:1]
	v_pk_mul_f32 v[2:3], s[72:73], v[2:3]
	v_lshl_add_u64 v[4:5], v[4:5], 4, s[0:1]
	global_store_dwordx4 v[4:5], v[0:3], off
	s_endpgm
	.section	.rodata,"a",@progbits
	.p2align	6, 0x0
	.amdhsa_kernel _Z30fast_hadamard_transform_kernelI37fast_hadamard_transform_kernel_traitsILi256ELi15EfEEv18HadamardParamsBase
		.amdhsa_group_segment_fixed_size 0
		.amdhsa_private_segment_fixed_size 0
		.amdhsa_kernarg_size 312
		.amdhsa_user_sgpr_count 2
		.amdhsa_user_sgpr_dispatch_ptr 0
		.amdhsa_user_sgpr_queue_ptr 0
		.amdhsa_user_sgpr_kernarg_segment_ptr 1
		.amdhsa_user_sgpr_dispatch_id 0
		.amdhsa_user_sgpr_kernarg_preload_length 0
		.amdhsa_user_sgpr_kernarg_preload_offset 0
		.amdhsa_user_sgpr_private_segment_size 0
		.amdhsa_uses_dynamic_stack 0
		.amdhsa_enable_private_segment 0
		.amdhsa_system_sgpr_workgroup_id_x 1
		.amdhsa_system_sgpr_workgroup_id_y 0
		.amdhsa_system_sgpr_workgroup_id_z 0
		.amdhsa_system_sgpr_workgroup_info 0
		.amdhsa_system_vgpr_workitem_id 0
		.amdhsa_next_free_vgpr 326
		.amdhsa_next_free_sgpr 80
		.amdhsa_accum_offset 256
		.amdhsa_reserve_vcc 1
		.amdhsa_float_round_mode_32 0
		.amdhsa_float_round_mode_16_64 0
		.amdhsa_float_denorm_mode_32 3
		.amdhsa_float_denorm_mode_16_64 3
		.amdhsa_dx10_clamp 1
		.amdhsa_ieee_mode 1
		.amdhsa_fp16_overflow 0
		.amdhsa_tg_split 0
		.amdhsa_exception_fp_ieee_invalid_op 0
		.amdhsa_exception_fp_denorm_src 0
		.amdhsa_exception_fp_ieee_div_zero 0
		.amdhsa_exception_fp_ieee_overflow 0
		.amdhsa_exception_fp_ieee_underflow 0
		.amdhsa_exception_fp_ieee_inexact 0
		.amdhsa_exception_int_div_zero 0
	.end_amdhsa_kernel
	.section	.text._Z30fast_hadamard_transform_kernelI37fast_hadamard_transform_kernel_traitsILi256ELi15EfEEv18HadamardParamsBase,"axG",@progbits,_Z30fast_hadamard_transform_kernelI37fast_hadamard_transform_kernel_traitsILi256ELi15EfEEv18HadamardParamsBase,comdat
.Lfunc_end12:
	.size	_Z30fast_hadamard_transform_kernelI37fast_hadamard_transform_kernel_traitsILi256ELi15EfEEv18HadamardParamsBase, .Lfunc_end12-_Z30fast_hadamard_transform_kernelI37fast_hadamard_transform_kernel_traitsILi256ELi15EfEEv18HadamardParamsBase
                                        ; -- End function
	.set _Z30fast_hadamard_transform_kernelI37fast_hadamard_transform_kernel_traitsILi256ELi15EfEEv18HadamardParamsBase.num_vgpr, 256
	.set _Z30fast_hadamard_transform_kernelI37fast_hadamard_transform_kernel_traitsILi256ELi15EfEEv18HadamardParamsBase.num_agpr, 70
	.set _Z30fast_hadamard_transform_kernelI37fast_hadamard_transform_kernel_traitsILi256ELi15EfEEv18HadamardParamsBase.numbered_sgpr, 80
	.set _Z30fast_hadamard_transform_kernelI37fast_hadamard_transform_kernel_traitsILi256ELi15EfEEv18HadamardParamsBase.num_named_barrier, 0
	.set _Z30fast_hadamard_transform_kernelI37fast_hadamard_transform_kernel_traitsILi256ELi15EfEEv18HadamardParamsBase.private_seg_size, 0
	.set _Z30fast_hadamard_transform_kernelI37fast_hadamard_transform_kernel_traitsILi256ELi15EfEEv18HadamardParamsBase.uses_vcc, 1
	.set _Z30fast_hadamard_transform_kernelI37fast_hadamard_transform_kernel_traitsILi256ELi15EfEEv18HadamardParamsBase.uses_flat_scratch, 0
	.set _Z30fast_hadamard_transform_kernelI37fast_hadamard_transform_kernel_traitsILi256ELi15EfEEv18HadamardParamsBase.has_dyn_sized_stack, 0
	.set _Z30fast_hadamard_transform_kernelI37fast_hadamard_transform_kernel_traitsILi256ELi15EfEEv18HadamardParamsBase.has_recursion, 0
	.set _Z30fast_hadamard_transform_kernelI37fast_hadamard_transform_kernel_traitsILi256ELi15EfEEv18HadamardParamsBase.has_indirect_call, 0
	.section	.AMDGPU.csdata,"",@progbits
; Kernel info:
; codeLenInByte = 33968
; TotalNumSgprs: 86
; NumVgprs: 256
; NumAgprs: 70
; TotalNumVgprs: 326
; ScratchSize: 0
; MemoryBound: 0
; FloatMode: 240
; IeeeMode: 1
; LDSByteSize: 0 bytes/workgroup (compile time only)
; SGPRBlocks: 10
; VGPRBlocks: 40
; NumSGPRsForWavesPerEU: 86
; NumVGPRsForWavesPerEU: 326
; AccumOffset: 256
; Occupancy: 1
; WaveLimiterHint : 0
; COMPUTE_PGM_RSRC2:SCRATCH_EN: 0
; COMPUTE_PGM_RSRC2:USER_SGPR: 2
; COMPUTE_PGM_RSRC2:TRAP_HANDLER: 0
; COMPUTE_PGM_RSRC2:TGID_X_EN: 1
; COMPUTE_PGM_RSRC2:TGID_Y_EN: 0
; COMPUTE_PGM_RSRC2:TGID_Z_EN: 0
; COMPUTE_PGM_RSRC2:TIDIG_COMP_CNT: 0
; COMPUTE_PGM_RSRC3_GFX90A:ACCUM_OFFSET: 63
; COMPUTE_PGM_RSRC3_GFX90A:TG_SPLIT: 0
	.section	.text._Z30fast_hadamard_transform_kernelI37fast_hadamard_transform_kernel_traitsILi1ELi3E6__halfEEv18HadamardParamsBase,"axG",@progbits,_Z30fast_hadamard_transform_kernelI37fast_hadamard_transform_kernel_traitsILi1ELi3E6__halfEEv18HadamardParamsBase,comdat
	.protected	_Z30fast_hadamard_transform_kernelI37fast_hadamard_transform_kernel_traitsILi1ELi3E6__halfEEv18HadamardParamsBase ; -- Begin function _Z30fast_hadamard_transform_kernelI37fast_hadamard_transform_kernel_traitsILi1ELi3E6__halfEEv18HadamardParamsBase
	.globl	_Z30fast_hadamard_transform_kernelI37fast_hadamard_transform_kernel_traitsILi1ELi3E6__halfEEv18HadamardParamsBase
	.p2align	8
	.type	_Z30fast_hadamard_transform_kernelI37fast_hadamard_transform_kernel_traitsILi1ELi3E6__halfEEv18HadamardParamsBase,@function
_Z30fast_hadamard_transform_kernelI37fast_hadamard_transform_kernel_traitsILi1ELi3E6__halfEEv18HadamardParamsBase: ; @_Z30fast_hadamard_transform_kernelI37fast_hadamard_transform_kernel_traitsILi1ELi3E6__halfEEv18HadamardParamsBase
; %bb.0:
	s_load_dword s3, s[0:1], 0x4
	s_waitcnt lgkmcnt(0)
	s_cmp_eq_u32 s3, 0
	s_cbranch_scc1 .LBB13_2
; %bb.1:
	s_load_dwordx4 s[4:7], s[0:1], 0x10
	s_load_dword s12, s[0:1], 0x20
	s_load_dwordx4 s[8:11], s[0:1], 0x28
	s_ashr_i32 s3, s2, 31
	v_mov_b32_e32 v12, 0
	s_waitcnt lgkmcnt(0)
	s_mul_hi_u32 s0, s6, s2
	s_mul_i32 s1, s6, s3
	s_add_i32 s0, s0, s1
	s_mul_i32 s1, s7, s2
	s_add_i32 s1, s0, s1
	s_mul_i32 s0, s6, s2
	s_lshl_b64 s[0:1], s[0:1], 1
	s_add_u32 s6, s10, s0
	s_addc_u32 s7, s11, s1
	s_mul_hi_u32 s0, s4, s2
	s_mul_i32 s1, s4, s3
	s_add_i32 s0, s0, s1
	s_mul_i32 s1, s5, s2
	s_add_i32 s1, s0, s1
	s_mul_i32 s0, s4, s2
	s_lshl_b64 s[0:1], s[0:1], 1
	s_add_u32 s0, s8, s0
	s_addc_u32 s1, s9, s1
	s_load_dwordx4 s[0:3], s[0:1], 0x0
	s_waitcnt lgkmcnt(0)
	s_lshr_b32 s4, s0, 16
	s_lshr_b32 s5, s1, 16
	s_lshr_b32 s8, s2, 16
	s_lshr_b32 s9, s3, 16
	v_cvt_f32_f16_e32 v1, s0
	v_cvt_f32_f16_e32 v2, s4
	;; [unrolled: 1-line block ×8, first 2 shown]
	v_sub_f32_e32 v0, v1, v2
	v_add_f32_e32 v1, v1, v2
	v_sub_f32_e32 v2, v3, v4
	v_add_f32_e32 v3, v3, v4
	;; [unrolled: 2-line block ×4, first 2 shown]
	v_pk_add_f32 v[4:5], v[0:1], v[2:3] neg_lo:[0,1] neg_hi:[0,1]
	v_pk_add_f32 v[10:11], v[6:7], v[8:9] neg_lo:[0,1] neg_hi:[0,1]
	v_pk_add_f32 v[0:1], v[0:1], v[2:3]
	v_pk_add_f32 v[6:7], v[6:7], v[8:9]
	v_mov_b32_e32 v2, v0
	v_mov_b32_e32 v3, v5
	;; [unrolled: 1-line block ×4, first 2 shown]
	v_pk_add_f32 v[2:3], v[2:3], v[8:9]
	v_add_f32_e32 v8, v1, v7
	v_pk_add_f32 v[0:1], v[0:1], v[6:7] neg_lo:[0,1] neg_hi:[0,1]
	v_pk_mul_f32 v[2:3], s[12:13], v[2:3] op_sel_hi:[0,1]
	v_pk_mul_f32 v[0:1], s[12:13], v[0:1] op_sel:[0,1] op_sel_hi:[0,0]
	v_cvt_pk_f16_f32 v9, v2, v3
	v_cvt_pk_f16_f32 v2, v0, v1
	v_pk_add_f32 v[0:1], v[4:5], v[10:11] neg_lo:[0,1] neg_hi:[0,1]
	v_add_f32_e32 v13, v4, v10
	v_pk_mul_f32 v[0:1], s[12:13], v[0:1] op_sel:[0,1] op_sel_hi:[0,0]
	v_fma_mixlo_f16 v8, s12, v8, 0
	v_cvt_pk_f16_f32 v3, v0, v1
	v_lshrrev_b32_e32 v1, 16, v9
	v_fma_mixhi_f16 v1, s12, v13, 0
	v_pack_b32_f16 v0, v8, v9
	global_store_dwordx4 v12, v[0:3], s[6:7]
.LBB13_2:
	s_endpgm
	.section	.rodata,"a",@progbits
	.p2align	6, 0x0
	.amdhsa_kernel _Z30fast_hadamard_transform_kernelI37fast_hadamard_transform_kernel_traitsILi1ELi3E6__halfEEv18HadamardParamsBase
		.amdhsa_group_segment_fixed_size 0
		.amdhsa_private_segment_fixed_size 0
		.amdhsa_kernarg_size 56
		.amdhsa_user_sgpr_count 2
		.amdhsa_user_sgpr_dispatch_ptr 0
		.amdhsa_user_sgpr_queue_ptr 0
		.amdhsa_user_sgpr_kernarg_segment_ptr 1
		.amdhsa_user_sgpr_dispatch_id 0
		.amdhsa_user_sgpr_kernarg_preload_length 0
		.amdhsa_user_sgpr_kernarg_preload_offset 0
		.amdhsa_user_sgpr_private_segment_size 0
		.amdhsa_uses_dynamic_stack 0
		.amdhsa_enable_private_segment 0
		.amdhsa_system_sgpr_workgroup_id_x 1
		.amdhsa_system_sgpr_workgroup_id_y 0
		.amdhsa_system_sgpr_workgroup_id_z 0
		.amdhsa_system_sgpr_workgroup_info 0
		.amdhsa_system_vgpr_workitem_id 0
		.amdhsa_next_free_vgpr 14
		.amdhsa_next_free_sgpr 14
		.amdhsa_accum_offset 16
		.amdhsa_reserve_vcc 0
		.amdhsa_float_round_mode_32 0
		.amdhsa_float_round_mode_16_64 0
		.amdhsa_float_denorm_mode_32 3
		.amdhsa_float_denorm_mode_16_64 3
		.amdhsa_dx10_clamp 1
		.amdhsa_ieee_mode 1
		.amdhsa_fp16_overflow 0
		.amdhsa_tg_split 0
		.amdhsa_exception_fp_ieee_invalid_op 0
		.amdhsa_exception_fp_denorm_src 0
		.amdhsa_exception_fp_ieee_div_zero 0
		.amdhsa_exception_fp_ieee_overflow 0
		.amdhsa_exception_fp_ieee_underflow 0
		.amdhsa_exception_fp_ieee_inexact 0
		.amdhsa_exception_int_div_zero 0
	.end_amdhsa_kernel
	.section	.text._Z30fast_hadamard_transform_kernelI37fast_hadamard_transform_kernel_traitsILi1ELi3E6__halfEEv18HadamardParamsBase,"axG",@progbits,_Z30fast_hadamard_transform_kernelI37fast_hadamard_transform_kernel_traitsILi1ELi3E6__halfEEv18HadamardParamsBase,comdat
.Lfunc_end13:
	.size	_Z30fast_hadamard_transform_kernelI37fast_hadamard_transform_kernel_traitsILi1ELi3E6__halfEEv18HadamardParamsBase, .Lfunc_end13-_Z30fast_hadamard_transform_kernelI37fast_hadamard_transform_kernel_traitsILi1ELi3E6__halfEEv18HadamardParamsBase
                                        ; -- End function
	.set _Z30fast_hadamard_transform_kernelI37fast_hadamard_transform_kernel_traitsILi1ELi3E6__halfEEv18HadamardParamsBase.num_vgpr, 14
	.set _Z30fast_hadamard_transform_kernelI37fast_hadamard_transform_kernel_traitsILi1ELi3E6__halfEEv18HadamardParamsBase.num_agpr, 0
	.set _Z30fast_hadamard_transform_kernelI37fast_hadamard_transform_kernel_traitsILi1ELi3E6__halfEEv18HadamardParamsBase.numbered_sgpr, 14
	.set _Z30fast_hadamard_transform_kernelI37fast_hadamard_transform_kernel_traitsILi1ELi3E6__halfEEv18HadamardParamsBase.num_named_barrier, 0
	.set _Z30fast_hadamard_transform_kernelI37fast_hadamard_transform_kernel_traitsILi1ELi3E6__halfEEv18HadamardParamsBase.private_seg_size, 0
	.set _Z30fast_hadamard_transform_kernelI37fast_hadamard_transform_kernel_traitsILi1ELi3E6__halfEEv18HadamardParamsBase.uses_vcc, 0
	.set _Z30fast_hadamard_transform_kernelI37fast_hadamard_transform_kernel_traitsILi1ELi3E6__halfEEv18HadamardParamsBase.uses_flat_scratch, 0
	.set _Z30fast_hadamard_transform_kernelI37fast_hadamard_transform_kernel_traitsILi1ELi3E6__halfEEv18HadamardParamsBase.has_dyn_sized_stack, 0
	.set _Z30fast_hadamard_transform_kernelI37fast_hadamard_transform_kernel_traitsILi1ELi3E6__halfEEv18HadamardParamsBase.has_recursion, 0
	.set _Z30fast_hadamard_transform_kernelI37fast_hadamard_transform_kernel_traitsILi1ELi3E6__halfEEv18HadamardParamsBase.has_indirect_call, 0
	.section	.AMDGPU.csdata,"",@progbits
; Kernel info:
; codeLenInByte = 388
; TotalNumSgprs: 20
; NumVgprs: 14
; NumAgprs: 0
; TotalNumVgprs: 14
; ScratchSize: 0
; MemoryBound: 0
; FloatMode: 240
; IeeeMode: 1
; LDSByteSize: 0 bytes/workgroup (compile time only)
; SGPRBlocks: 2
; VGPRBlocks: 1
; NumSGPRsForWavesPerEU: 20
; NumVGPRsForWavesPerEU: 14
; AccumOffset: 16
; Occupancy: 8
; WaveLimiterHint : 0
; COMPUTE_PGM_RSRC2:SCRATCH_EN: 0
; COMPUTE_PGM_RSRC2:USER_SGPR: 2
; COMPUTE_PGM_RSRC2:TRAP_HANDLER: 0
; COMPUTE_PGM_RSRC2:TGID_X_EN: 1
; COMPUTE_PGM_RSRC2:TGID_Y_EN: 0
; COMPUTE_PGM_RSRC2:TGID_Z_EN: 0
; COMPUTE_PGM_RSRC2:TIDIG_COMP_CNT: 0
; COMPUTE_PGM_RSRC3_GFX90A:ACCUM_OFFSET: 3
; COMPUTE_PGM_RSRC3_GFX90A:TG_SPLIT: 0
	.section	.text._Z30fast_hadamard_transform_kernelI37fast_hadamard_transform_kernel_traitsILi2ELi4E6__halfEEv18HadamardParamsBase,"axG",@progbits,_Z30fast_hadamard_transform_kernelI37fast_hadamard_transform_kernel_traitsILi2ELi4E6__halfEEv18HadamardParamsBase,comdat
	.protected	_Z30fast_hadamard_transform_kernelI37fast_hadamard_transform_kernel_traitsILi2ELi4E6__halfEEv18HadamardParamsBase ; -- Begin function _Z30fast_hadamard_transform_kernelI37fast_hadamard_transform_kernel_traitsILi2ELi4E6__halfEEv18HadamardParamsBase
	.globl	_Z30fast_hadamard_transform_kernelI37fast_hadamard_transform_kernel_traitsILi2ELi4E6__halfEEv18HadamardParamsBase
	.p2align	8
	.type	_Z30fast_hadamard_transform_kernelI37fast_hadamard_transform_kernel_traitsILi2ELi4E6__halfEEv18HadamardParamsBase,@function
_Z30fast_hadamard_transform_kernelI37fast_hadamard_transform_kernel_traitsILi2ELi4E6__halfEEv18HadamardParamsBase: ; @_Z30fast_hadamard_transform_kernelI37fast_hadamard_transform_kernel_traitsILi2ELi4E6__halfEEv18HadamardParamsBase
; %bb.0:
	s_load_dword s4, s[0:1], 0x4
	v_lshlrev_b32_e32 v1, 3, v0
	v_mov_b32_e32 v2, 0
	s_ashr_i32 s3, s2, 31
	v_mov_b32_e32 v4, 0
	s_waitcnt lgkmcnt(0)
	v_cmp_gt_u32_e32 vcc, s4, v1
	v_lshlrev_b32_e32 v1, 4, v0
	v_mov_b32_e32 v3, v2
	v_mov_b32_e32 v5, v2
	;; [unrolled: 1-line block ×6, first 2 shown]
	s_and_saveexec_b64 s[4:5], vcc
	s_cbranch_execz .LBB14_2
; %bb.1:
	s_load_dwordx2 s[6:7], s[0:1], 0x10
	s_load_dwordx2 s[8:9], s[0:1], 0x28
	s_waitcnt lgkmcnt(0)
	s_mul_i32 s10, s6, s3
	s_mul_hi_u32 s11, s6, s2
	s_mul_i32 s7, s7, s2
	s_add_i32 s10, s11, s10
	s_mul_i32 s6, s6, s2
	s_add_i32 s7, s10, s7
	s_lshl_b64 s[6:7], s[6:7], 1
	s_add_u32 s6, s8, s6
	s_addc_u32 s7, s9, s7
	global_load_dwordx4 v[2:5], v1, s[6:7]
	s_waitcnt vmcnt(0)
	v_cvt_f32_f16_e32 v6, v2
	v_cvt_f32_f16_sdwa v8, v2 dst_sel:DWORD dst_unused:UNUSED_PAD src0_sel:WORD_1
	v_cvt_f32_f16_e32 v7, v3
	v_cvt_f32_f16_sdwa v9, v3 dst_sel:DWORD dst_unused:UNUSED_PAD src0_sel:WORD_1
	;; [unrolled: 2-line block ×4, first 2 shown]
.LBB14_2:
	s_or_b64 exec, exec, s[4:5]
	v_pk_add_f32 v[10:11], v[8:9], v[6:7]
	v_sub_f32_e32 v7, v7, v9
	v_sub_f32_e32 v9, v6, v8
	v_pk_add_f32 v[12:13], v[4:5], v[2:3]
	v_sub_f32_e32 v3, v3, v5
	v_sub_f32_e32 v5, v2, v4
	v_mov_b32_e32 v8, v10
	v_mov_b32_e32 v6, v11
	v_pk_add_f32 v[14:15], v[6:7], v[8:9]
	v_sub_f32_e32 v6, v10, v11
	v_sub_f32_e32 v7, v9, v7
	v_mov_b32_e32 v4, v12
	v_mov_b32_e32 v2, v13
	v_sub_f32_e32 v16, v12, v13
	v_sub_f32_e32 v17, v5, v3
	v_pk_add_f32 v[8:9], v[2:3], v[4:5]
	v_sub_f32_e32 v12, v6, v16
	v_pk_add_f32 v[4:5], v[16:17], v[6:7]
	v_mbcnt_lo_u32_b32 v6, -1, 0
	v_mbcnt_hi_u32_b32 v6, -1, v6
	v_sub_f32_e32 v10, v14, v8
	v_pk_add_f32 v[2:3], v[8:9], v[14:15]
	v_and_b32_e32 v8, 64, v6
	v_sub_f32_e32 v13, v7, v17
	v_xor_b32_e32 v7, 1, v6
	v_add_u32_e32 v8, 64, v8
	v_cmp_lt_i32_e64 s[4:5], v7, v8
	v_sub_f32_e32 v11, v15, v9
	s_nop 0
	v_cndmask_b32_e64 v6, v6, v7, s[4:5]
	v_lshlrev_b32_e32 v17, 2, v6
	ds_bpermute_b32 v6, v17, v2
	ds_bpermute_b32 v7, v17, v3
	;; [unrolled: 1-line block ×8, first 2 shown]
	s_and_saveexec_b64 s[4:5], vcc
	s_cbranch_execz .LBB14_4
; %bb.3:
	s_load_dwordx2 s[4:5], s[0:1], 0x18
	s_load_dwordx2 s[6:7], s[0:1], 0x30
	s_load_dword s8, s[0:1], 0x20
	v_cmp_eq_u32_e32 vcc, 0, v0
	s_waitcnt lgkmcnt(0)
	s_mul_i32 s0, s4, s3
	s_mul_hi_u32 s1, s4, s2
	s_mul_i32 s3, s5, s2
	s_add_i32 s0, s1, s0
	s_add_i32 s1, s0, s3
	s_mul_i32 s0, s4, s2
	v_cndmask_b32_e64 v0, -v13, v13, vcc
	v_cndmask_b32_e64 v12, -v12, v12, vcc
	;; [unrolled: 1-line block ×8, first 2 shown]
	s_lshl_b64 s[0:1], s[0:1], 1
	v_add_f32_e32 v0, v0, v17
	v_add_f32_e32 v12, v12, v16
	;; [unrolled: 1-line block ×4, first 2 shown]
	v_pk_add_f32 v[4:5], v[4:5], v[8:9]
	v_pk_add_f32 v[2:3], v[2:3], v[6:7]
	s_add_u32 s0, s6, s0
	v_mul_f32_e32 v0, s8, v0
	v_mul_f32_e32 v12, s8, v12
	;; [unrolled: 1-line block ×4, first 2 shown]
	v_pk_mul_f32 v[6:7], s[8:9], v[2:3] op_sel_hi:[0,1]
	v_pk_mul_f32 v[2:3], s[8:9], v[4:5] op_sel_hi:[0,1]
	s_addc_u32 s1, s7, s1
	v_cvt_pk_f16_f32 v3, v2, v3
	v_cvt_pk_f16_f32 v2, v6, v7
	;; [unrolled: 1-line block ×4, first 2 shown]
	global_store_dwordx4 v1, v[2:5], s[0:1]
.LBB14_4:
	s_endpgm
	.section	.rodata,"a",@progbits
	.p2align	6, 0x0
	.amdhsa_kernel _Z30fast_hadamard_transform_kernelI37fast_hadamard_transform_kernel_traitsILi2ELi4E6__halfEEv18HadamardParamsBase
		.amdhsa_group_segment_fixed_size 0
		.amdhsa_private_segment_fixed_size 0
		.amdhsa_kernarg_size 56
		.amdhsa_user_sgpr_count 2
		.amdhsa_user_sgpr_dispatch_ptr 0
		.amdhsa_user_sgpr_queue_ptr 0
		.amdhsa_user_sgpr_kernarg_segment_ptr 1
		.amdhsa_user_sgpr_dispatch_id 0
		.amdhsa_user_sgpr_kernarg_preload_length 0
		.amdhsa_user_sgpr_kernarg_preload_offset 0
		.amdhsa_user_sgpr_private_segment_size 0
		.amdhsa_uses_dynamic_stack 0
		.amdhsa_enable_private_segment 0
		.amdhsa_system_sgpr_workgroup_id_x 1
		.amdhsa_system_sgpr_workgroup_id_y 0
		.amdhsa_system_sgpr_workgroup_id_z 0
		.amdhsa_system_sgpr_workgroup_info 0
		.amdhsa_system_vgpr_workitem_id 0
		.amdhsa_next_free_vgpr 18
		.amdhsa_next_free_sgpr 12
		.amdhsa_accum_offset 20
		.amdhsa_reserve_vcc 1
		.amdhsa_float_round_mode_32 0
		.amdhsa_float_round_mode_16_64 0
		.amdhsa_float_denorm_mode_32 3
		.amdhsa_float_denorm_mode_16_64 3
		.amdhsa_dx10_clamp 1
		.amdhsa_ieee_mode 1
		.amdhsa_fp16_overflow 0
		.amdhsa_tg_split 0
		.amdhsa_exception_fp_ieee_invalid_op 0
		.amdhsa_exception_fp_denorm_src 0
		.amdhsa_exception_fp_ieee_div_zero 0
		.amdhsa_exception_fp_ieee_overflow 0
		.amdhsa_exception_fp_ieee_underflow 0
		.amdhsa_exception_fp_ieee_inexact 0
		.amdhsa_exception_int_div_zero 0
	.end_amdhsa_kernel
	.section	.text._Z30fast_hadamard_transform_kernelI37fast_hadamard_transform_kernel_traitsILi2ELi4E6__halfEEv18HadamardParamsBase,"axG",@progbits,_Z30fast_hadamard_transform_kernelI37fast_hadamard_transform_kernel_traitsILi2ELi4E6__halfEEv18HadamardParamsBase,comdat
.Lfunc_end14:
	.size	_Z30fast_hadamard_transform_kernelI37fast_hadamard_transform_kernel_traitsILi2ELi4E6__halfEEv18HadamardParamsBase, .Lfunc_end14-_Z30fast_hadamard_transform_kernelI37fast_hadamard_transform_kernel_traitsILi2ELi4E6__halfEEv18HadamardParamsBase
                                        ; -- End function
	.set _Z30fast_hadamard_transform_kernelI37fast_hadamard_transform_kernel_traitsILi2ELi4E6__halfEEv18HadamardParamsBase.num_vgpr, 18
	.set _Z30fast_hadamard_transform_kernelI37fast_hadamard_transform_kernel_traitsILi2ELi4E6__halfEEv18HadamardParamsBase.num_agpr, 0
	.set _Z30fast_hadamard_transform_kernelI37fast_hadamard_transform_kernel_traitsILi2ELi4E6__halfEEv18HadamardParamsBase.numbered_sgpr, 12
	.set _Z30fast_hadamard_transform_kernelI37fast_hadamard_transform_kernel_traitsILi2ELi4E6__halfEEv18HadamardParamsBase.num_named_barrier, 0
	.set _Z30fast_hadamard_transform_kernelI37fast_hadamard_transform_kernel_traitsILi2ELi4E6__halfEEv18HadamardParamsBase.private_seg_size, 0
	.set _Z30fast_hadamard_transform_kernelI37fast_hadamard_transform_kernel_traitsILi2ELi4E6__halfEEv18HadamardParamsBase.uses_vcc, 1
	.set _Z30fast_hadamard_transform_kernelI37fast_hadamard_transform_kernel_traitsILi2ELi4E6__halfEEv18HadamardParamsBase.uses_flat_scratch, 0
	.set _Z30fast_hadamard_transform_kernelI37fast_hadamard_transform_kernel_traitsILi2ELi4E6__halfEEv18HadamardParamsBase.has_dyn_sized_stack, 0
	.set _Z30fast_hadamard_transform_kernelI37fast_hadamard_transform_kernel_traitsILi2ELi4E6__halfEEv18HadamardParamsBase.has_recursion, 0
	.set _Z30fast_hadamard_transform_kernelI37fast_hadamard_transform_kernel_traitsILi2ELi4E6__halfEEv18HadamardParamsBase.has_indirect_call, 0
	.section	.AMDGPU.csdata,"",@progbits
; Kernel info:
; codeLenInByte = 664
; TotalNumSgprs: 18
; NumVgprs: 18
; NumAgprs: 0
; TotalNumVgprs: 18
; ScratchSize: 0
; MemoryBound: 0
; FloatMode: 240
; IeeeMode: 1
; LDSByteSize: 0 bytes/workgroup (compile time only)
; SGPRBlocks: 2
; VGPRBlocks: 2
; NumSGPRsForWavesPerEU: 18
; NumVGPRsForWavesPerEU: 18
; AccumOffset: 20
; Occupancy: 8
; WaveLimiterHint : 0
; COMPUTE_PGM_RSRC2:SCRATCH_EN: 0
; COMPUTE_PGM_RSRC2:USER_SGPR: 2
; COMPUTE_PGM_RSRC2:TRAP_HANDLER: 0
; COMPUTE_PGM_RSRC2:TGID_X_EN: 1
; COMPUTE_PGM_RSRC2:TGID_Y_EN: 0
; COMPUTE_PGM_RSRC2:TGID_Z_EN: 0
; COMPUTE_PGM_RSRC2:TIDIG_COMP_CNT: 0
; COMPUTE_PGM_RSRC3_GFX90A:ACCUM_OFFSET: 4
; COMPUTE_PGM_RSRC3_GFX90A:TG_SPLIT: 0
	.section	.text._Z30fast_hadamard_transform_kernelI37fast_hadamard_transform_kernel_traitsILi4ELi5E6__halfEEv18HadamardParamsBase,"axG",@progbits,_Z30fast_hadamard_transform_kernelI37fast_hadamard_transform_kernel_traitsILi4ELi5E6__halfEEv18HadamardParamsBase,comdat
	.protected	_Z30fast_hadamard_transform_kernelI37fast_hadamard_transform_kernel_traitsILi4ELi5E6__halfEEv18HadamardParamsBase ; -- Begin function _Z30fast_hadamard_transform_kernelI37fast_hadamard_transform_kernel_traitsILi4ELi5E6__halfEEv18HadamardParamsBase
	.globl	_Z30fast_hadamard_transform_kernelI37fast_hadamard_transform_kernel_traitsILi4ELi5E6__halfEEv18HadamardParamsBase
	.p2align	8
	.type	_Z30fast_hadamard_transform_kernelI37fast_hadamard_transform_kernel_traitsILi4ELi5E6__halfEEv18HadamardParamsBase,@function
_Z30fast_hadamard_transform_kernelI37fast_hadamard_transform_kernel_traitsILi4ELi5E6__halfEEv18HadamardParamsBase: ; @_Z30fast_hadamard_transform_kernelI37fast_hadamard_transform_kernel_traitsILi4ELi5E6__halfEEv18HadamardParamsBase
; %bb.0:
	s_load_dword s4, s[0:1], 0x4
	v_lshlrev_b32_e32 v1, 3, v0
	v_mov_b32_e32 v2, 0
	s_ashr_i32 s3, s2, 31
	v_mov_b32_e32 v3, v2
	s_waitcnt lgkmcnt(0)
	v_cmp_gt_u32_e32 vcc, s4, v1
	v_lshlrev_b32_e32 v1, 4, v0
	v_mov_b32_e32 v4, v2
	v_mov_b32_e32 v5, v2
	;; [unrolled: 1-line block ×6, first 2 shown]
	s_and_saveexec_b64 s[4:5], vcc
	s_cbranch_execz .LBB15_2
; %bb.1:
	s_load_dwordx2 s[6:7], s[0:1], 0x10
	s_load_dwordx2 s[8:9], s[0:1], 0x28
	s_waitcnt lgkmcnt(0)
	s_mul_i32 s10, s6, s3
	s_mul_hi_u32 s11, s6, s2
	s_mul_i32 s7, s7, s2
	s_add_i32 s10, s11, s10
	s_mul_i32 s6, s6, s2
	s_add_i32 s7, s10, s7
	s_lshl_b64 s[6:7], s[6:7], 1
	s_add_u32 s6, s8, s6
	s_addc_u32 s7, s9, s7
	global_load_dwordx4 v[10:13], v1, s[6:7]
	s_waitcnt vmcnt(0)
	v_cvt_f32_f16_e32 v8, v10
	v_cvt_f32_f16_sdwa v9, v10 dst_sel:DWORD dst_unused:UNUSED_PAD src0_sel:WORD_1
	v_cvt_f32_f16_e32 v6, v11
	v_cvt_f32_f16_sdwa v7, v11 dst_sel:DWORD dst_unused:UNUSED_PAD src0_sel:WORD_1
	;; [unrolled: 2-line block ×4, first 2 shown]
.LBB15_2:
	s_or_b64 exec, exec, s[4:5]
	v_pk_add_f32 v[10:11], v[8:9], v[8:9] op_sel:[0,1]
	v_pk_add_f32 v[8:9], v[8:9], v[8:9] op_sel_hi:[0,1] neg_lo:[0,1] neg_hi:[0,1]
	v_mov_b32_e32 v11, v9
	v_pk_add_f32 v[8:9], v[6:7], v[6:7] op_sel:[0,1]
	v_pk_add_f32 v[6:7], v[6:7], v[6:7] op_sel_hi:[0,1] neg_lo:[0,1] neg_hi:[0,1]
	v_mov_b32_e32 v9, v7
	;; [unrolled: 3-line block ×3, first 2 shown]
	v_pk_add_f32 v[4:5], v[2:3], v[2:3] op_sel:[0,1]
	v_pk_add_f32 v[2:3], v[2:3], v[2:3] op_sel_hi:[0,1] neg_lo:[0,1] neg_hi:[0,1]
	v_mbcnt_lo_u32_b32 v2, -1, 0
	v_mbcnt_hi_u32_b32 v16, -1, v2
	v_and_b32_e32 v2, 64, v16
	v_add_u32_e32 v17, 64, v2
	v_xor_b32_e32 v2, 1, v16
	v_cmp_lt_i32_e64 s[4:5], v2, v17
	v_mov_b32_e32 v5, v3
	v_pk_add_f32 v[12:13], v[6:7], v[4:5] neg_lo:[0,1] neg_hi:[0,1]
	v_cndmask_b32_e64 v2, v16, v2, s[4:5]
	v_lshlrev_b32_e32 v19, 2, v2
	v_pk_add_f32 v[2:3], v[10:11], v[8:9] neg_lo:[0,1] neg_hi:[0,1]
	v_pk_add_f32 v[8:9], v[8:9], v[10:11]
	v_pk_add_f32 v[4:5], v[4:5], v[6:7]
	v_and_b32_e32 v18, 1, v0
	v_pk_add_f32 v[6:7], v[4:5], v[8:9]
	ds_bpermute_b32 v10, v19, v6
	ds_bpermute_b32 v11, v19, v7
	v_cmp_eq_u32_e64 s[4:5], 0, v18
	v_pk_add_f32 v[4:5], v[8:9], v[4:5] neg_lo:[0,1] neg_hi:[0,1]
	v_pk_add_f32 v[14:15], v[2:3], v[12:13] neg_lo:[0,1] neg_hi:[0,1]
	v_cndmask_b32_e64 v6, -v6, v6, s[4:5]
	s_waitcnt lgkmcnt(1)
	v_add_f32_e32 v10, v6, v10
	v_cndmask_b32_e64 v6, -v7, v7, s[4:5]
	v_pk_add_f32 v[2:3], v[12:13], v[2:3]
	s_waitcnt lgkmcnt(0)
	v_add_f32_e32 v11, v6, v11
	ds_bpermute_b32 v6, v19, v4
	ds_bpermute_b32 v7, v19, v5
	;; [unrolled: 1-line block ×6, first 2 shown]
	v_cndmask_b32_e64 v5, -v5, v5, s[4:5]
	v_cndmask_b32_e64 v4, -v4, v4, s[4:5]
	;; [unrolled: 1-line block ×4, first 2 shown]
	s_waitcnt lgkmcnt(4)
	v_pk_add_f32 v[4:5], v[4:5], v[6:7]
	v_cndmask_b32_e64 v6, -v14, v14, s[4:5]
	s_waitcnt lgkmcnt(2)
	v_pk_add_f32 v[2:3], v[2:3], v[12:13]
	s_waitcnt lgkmcnt(1)
	v_add_f32_e32 v13, v6, v8
	v_cndmask_b32_e64 v6, -v15, v15, s[4:5]
	s_waitcnt lgkmcnt(0)
	v_add_f32_e32 v15, v6, v9
	v_xor_b32_e32 v6, 2, v16
	v_cmp_lt_i32_e64 s[4:5], v6, v17
	s_nop 1
	v_cndmask_b32_e64 v6, v16, v6, s[4:5]
	v_lshlrev_b32_e32 v17, 2, v6
	ds_bpermute_b32 v12, v17, v10
	ds_bpermute_b32 v14, v17, v11
	;; [unrolled: 1-line block ×8, first 2 shown]
	s_and_saveexec_b64 s[4:5], vcc
	s_cbranch_execz .LBB15_4
; %bb.3:
	s_load_dwordx2 s[4:5], s[0:1], 0x18
	s_load_dwordx2 s[6:7], s[0:1], 0x30
	s_load_dword s8, s[0:1], 0x20
	v_and_b32_e32 v0, 2, v0
	v_cmp_eq_u32_e32 vcc, 0, v0
	s_waitcnt lgkmcnt(0)
	s_mul_i32 s0, s4, s3
	s_mul_hi_u32 s1, s4, s2
	s_mul_i32 s3, s5, s2
	s_add_i32 s0, s1, s0
	s_add_i32 s1, s0, s3
	s_mul_i32 s0, s4, s2
	v_cndmask_b32_e64 v0, -v15, v15, vcc
	v_cndmask_b32_e64 v13, -v13, v13, vcc
	;; [unrolled: 1-line block ×8, first 2 shown]
	s_lshl_b64 s[0:1], s[0:1], 1
	v_add_f32_e32 v0, v0, v17
	v_add_f32_e32 v13, v13, v16
	;; [unrolled: 1-line block ×4, first 2 shown]
	v_pk_add_f32 v[2:3], v[2:3], v[8:9]
	v_pk_add_f32 v[4:5], v[4:5], v[6:7]
	s_add_u32 s0, s6, s0
	v_mul_f32_e32 v0, s8, v0
	v_mul_f32_e32 v12, s8, v13
	;; [unrolled: 1-line block ×4, first 2 shown]
	v_pk_mul_f32 v[2:3], s[8:9], v[2:3] op_sel_hi:[0,1]
	v_pk_mul_f32 v[4:5], s[8:9], v[4:5] op_sel_hi:[0,1]
	s_addc_u32 s1, s7, s1
	v_cvt_pk_f16_f32 v3, v2, v3
	v_cvt_pk_f16_f32 v4, v4, v5
	v_cvt_pk_f16_f32 v5, v12, v0
	v_cvt_pk_f16_f32 v2, v10, v11
	global_store_dwordx4 v1, v[2:5], s[0:1]
.LBB15_4:
	s_endpgm
	.section	.rodata,"a",@progbits
	.p2align	6, 0x0
	.amdhsa_kernel _Z30fast_hadamard_transform_kernelI37fast_hadamard_transform_kernel_traitsILi4ELi5E6__halfEEv18HadamardParamsBase
		.amdhsa_group_segment_fixed_size 0
		.amdhsa_private_segment_fixed_size 0
		.amdhsa_kernarg_size 56
		.amdhsa_user_sgpr_count 2
		.amdhsa_user_sgpr_dispatch_ptr 0
		.amdhsa_user_sgpr_queue_ptr 0
		.amdhsa_user_sgpr_kernarg_segment_ptr 1
		.amdhsa_user_sgpr_dispatch_id 0
		.amdhsa_user_sgpr_kernarg_preload_length 0
		.amdhsa_user_sgpr_kernarg_preload_offset 0
		.amdhsa_user_sgpr_private_segment_size 0
		.amdhsa_uses_dynamic_stack 0
		.amdhsa_enable_private_segment 0
		.amdhsa_system_sgpr_workgroup_id_x 1
		.amdhsa_system_sgpr_workgroup_id_y 0
		.amdhsa_system_sgpr_workgroup_id_z 0
		.amdhsa_system_sgpr_workgroup_info 0
		.amdhsa_system_vgpr_workitem_id 0
		.amdhsa_next_free_vgpr 20
		.amdhsa_next_free_sgpr 12
		.amdhsa_accum_offset 20
		.amdhsa_reserve_vcc 1
		.amdhsa_float_round_mode_32 0
		.amdhsa_float_round_mode_16_64 0
		.amdhsa_float_denorm_mode_32 3
		.amdhsa_float_denorm_mode_16_64 3
		.amdhsa_dx10_clamp 1
		.amdhsa_ieee_mode 1
		.amdhsa_fp16_overflow 0
		.amdhsa_tg_split 0
		.amdhsa_exception_fp_ieee_invalid_op 0
		.amdhsa_exception_fp_denorm_src 0
		.amdhsa_exception_fp_ieee_div_zero 0
		.amdhsa_exception_fp_ieee_overflow 0
		.amdhsa_exception_fp_ieee_underflow 0
		.amdhsa_exception_fp_ieee_inexact 0
		.amdhsa_exception_int_div_zero 0
	.end_amdhsa_kernel
	.section	.text._Z30fast_hadamard_transform_kernelI37fast_hadamard_transform_kernel_traitsILi4ELi5E6__halfEEv18HadamardParamsBase,"axG",@progbits,_Z30fast_hadamard_transform_kernelI37fast_hadamard_transform_kernel_traitsILi4ELi5E6__halfEEv18HadamardParamsBase,comdat
.Lfunc_end15:
	.size	_Z30fast_hadamard_transform_kernelI37fast_hadamard_transform_kernel_traitsILi4ELi5E6__halfEEv18HadamardParamsBase, .Lfunc_end15-_Z30fast_hadamard_transform_kernelI37fast_hadamard_transform_kernel_traitsILi4ELi5E6__halfEEv18HadamardParamsBase
                                        ; -- End function
	.set _Z30fast_hadamard_transform_kernelI37fast_hadamard_transform_kernel_traitsILi4ELi5E6__halfEEv18HadamardParamsBase.num_vgpr, 20
	.set _Z30fast_hadamard_transform_kernelI37fast_hadamard_transform_kernel_traitsILi4ELi5E6__halfEEv18HadamardParamsBase.num_agpr, 0
	.set _Z30fast_hadamard_transform_kernelI37fast_hadamard_transform_kernel_traitsILi4ELi5E6__halfEEv18HadamardParamsBase.numbered_sgpr, 12
	.set _Z30fast_hadamard_transform_kernelI37fast_hadamard_transform_kernel_traitsILi4ELi5E6__halfEEv18HadamardParamsBase.num_named_barrier, 0
	.set _Z30fast_hadamard_transform_kernelI37fast_hadamard_transform_kernel_traitsILi4ELi5E6__halfEEv18HadamardParamsBase.private_seg_size, 0
	.set _Z30fast_hadamard_transform_kernelI37fast_hadamard_transform_kernel_traitsILi4ELi5E6__halfEEv18HadamardParamsBase.uses_vcc, 1
	.set _Z30fast_hadamard_transform_kernelI37fast_hadamard_transform_kernel_traitsILi4ELi5E6__halfEEv18HadamardParamsBase.uses_flat_scratch, 0
	.set _Z30fast_hadamard_transform_kernelI37fast_hadamard_transform_kernel_traitsILi4ELi5E6__halfEEv18HadamardParamsBase.has_dyn_sized_stack, 0
	.set _Z30fast_hadamard_transform_kernelI37fast_hadamard_transform_kernel_traitsILi4ELi5E6__halfEEv18HadamardParamsBase.has_recursion, 0
	.set _Z30fast_hadamard_transform_kernelI37fast_hadamard_transform_kernel_traitsILi4ELi5E6__halfEEv18HadamardParamsBase.has_indirect_call, 0
	.section	.AMDGPU.csdata,"",@progbits
; Kernel info:
; codeLenInByte = 920
; TotalNumSgprs: 18
; NumVgprs: 20
; NumAgprs: 0
; TotalNumVgprs: 20
; ScratchSize: 0
; MemoryBound: 0
; FloatMode: 240
; IeeeMode: 1
; LDSByteSize: 0 bytes/workgroup (compile time only)
; SGPRBlocks: 2
; VGPRBlocks: 2
; NumSGPRsForWavesPerEU: 18
; NumVGPRsForWavesPerEU: 20
; AccumOffset: 20
; Occupancy: 8
; WaveLimiterHint : 0
; COMPUTE_PGM_RSRC2:SCRATCH_EN: 0
; COMPUTE_PGM_RSRC2:USER_SGPR: 2
; COMPUTE_PGM_RSRC2:TRAP_HANDLER: 0
; COMPUTE_PGM_RSRC2:TGID_X_EN: 1
; COMPUTE_PGM_RSRC2:TGID_Y_EN: 0
; COMPUTE_PGM_RSRC2:TGID_Z_EN: 0
; COMPUTE_PGM_RSRC2:TIDIG_COMP_CNT: 0
; COMPUTE_PGM_RSRC3_GFX90A:ACCUM_OFFSET: 4
; COMPUTE_PGM_RSRC3_GFX90A:TG_SPLIT: 0
	.section	.text._Z30fast_hadamard_transform_kernelI37fast_hadamard_transform_kernel_traitsILi8ELi6E6__halfEEv18HadamardParamsBase,"axG",@progbits,_Z30fast_hadamard_transform_kernelI37fast_hadamard_transform_kernel_traitsILi8ELi6E6__halfEEv18HadamardParamsBase,comdat
	.protected	_Z30fast_hadamard_transform_kernelI37fast_hadamard_transform_kernel_traitsILi8ELi6E6__halfEEv18HadamardParamsBase ; -- Begin function _Z30fast_hadamard_transform_kernelI37fast_hadamard_transform_kernel_traitsILi8ELi6E6__halfEEv18HadamardParamsBase
	.globl	_Z30fast_hadamard_transform_kernelI37fast_hadamard_transform_kernel_traitsILi8ELi6E6__halfEEv18HadamardParamsBase
	.p2align	8
	.type	_Z30fast_hadamard_transform_kernelI37fast_hadamard_transform_kernel_traitsILi8ELi6E6__halfEEv18HadamardParamsBase,@function
_Z30fast_hadamard_transform_kernelI37fast_hadamard_transform_kernel_traitsILi8ELi6E6__halfEEv18HadamardParamsBase: ; @_Z30fast_hadamard_transform_kernelI37fast_hadamard_transform_kernel_traitsILi8ELi6E6__halfEEv18HadamardParamsBase
; %bb.0:
	s_load_dword s4, s[0:1], 0x4
	v_lshlrev_b32_e32 v1, 3, v0
	v_mov_b32_e32 v3, 0
	s_ashr_i32 s3, s2, 31
	v_mov_b32_e32 v2, v3
	s_waitcnt lgkmcnt(0)
	v_cmp_gt_u32_e32 vcc, s4, v1
	v_lshlrev_b32_e32 v1, 4, v0
	v_mov_b32_e32 v6, v3
	v_mov_b32_e32 v7, v3
	;; [unrolled: 1-line block ×6, first 2 shown]
	s_and_saveexec_b64 s[4:5], vcc
	s_cbranch_execz .LBB16_2
; %bb.1:
	s_load_dwordx2 s[6:7], s[0:1], 0x10
	s_load_dwordx2 s[8:9], s[0:1], 0x28
	s_waitcnt lgkmcnt(0)
	s_mul_i32 s10, s6, s3
	s_mul_hi_u32 s11, s6, s2
	s_mul_i32 s7, s7, s2
	s_add_i32 s10, s11, s10
	s_mul_i32 s6, s6, s2
	s_add_i32 s7, s10, s7
	s_lshl_b64 s[6:7], s[6:7], 1
	s_add_u32 s6, s8, s6
	s_addc_u32 s7, s9, s7
	global_load_dwordx4 v[10:13], v1, s[6:7]
	s_waitcnt vmcnt(0)
	v_cvt_f32_f16_e32 v8, v10
	v_cvt_f32_f16_sdwa v9, v10 dst_sel:DWORD dst_unused:UNUSED_PAD src0_sel:WORD_1
	v_cvt_f32_f16_e32 v5, v11
	v_cvt_f32_f16_sdwa v4, v11 dst_sel:DWORD dst_unused:UNUSED_PAD src0_sel:WORD_1
	;; [unrolled: 2-line block ×4, first 2 shown]
.LBB16_2:
	s_or_b64 exec, exec, s[4:5]
	v_add_f32_e32 v12, v9, v8
	v_sub_f32_e32 v13, v8, v9
	v_mov_b32_e32 v8, v3
	v_mov_b32_e32 v9, v2
	v_pk_add_f32 v[8:9], v[8:9], v[2:3]
	v_sub_f32_e32 v2, v3, v2
	v_mbcnt_lo_u32_b32 v3, -1, 0
	v_mbcnt_hi_u32_b32 v16, -1, v3
	v_and_b32_e32 v3, 64, v16
	v_add_u32_e32 v17, 64, v3
	v_xor_b32_e32 v3, 1, v16
	v_cmp_lt_i32_e64 s[4:5], v3, v17
	v_mov_b32_e32 v10, v5
	v_mov_b32_e32 v11, v4
	v_cndmask_b32_e64 v3, v16, v3, s[4:5]
	v_lshlrev_b32_e32 v19, 2, v3
	v_xor_b32_e32 v3, 2, v16
	v_cmp_lt_i32_e64 s[4:5], v3, v17
	v_pk_add_f32 v[10:11], v[10:11], v[4:5]
	v_sub_f32_e32 v4, v5, v4
	v_cndmask_b32_e64 v3, v16, v3, s[4:5]
	v_add_f32_e32 v14, v7, v6
	v_sub_f32_e32 v15, v6, v7
	v_pk_mov_b32 v[6:7], v[10:11], v[4:5] op_sel:[1,0]
	v_sub_f32_e32 v5, v13, v4
	v_sub_f32_e32 v4, v12, v11
	v_pk_mov_b32 v[10:11], v[8:9], v[2:3] op_sel:[1,0]
	v_pk_add_f32 v[6:7], v[6:7], v[12:13]
	v_pk_add_f32 v[10:11], v[10:11], v[14:15]
	v_lshlrev_b32_e32 v21, 2, v3
	v_sub_f32_e32 v3, v15, v2
	v_sub_f32_e32 v2, v14, v9
	;; [unrolled: 1-line block ×4, first 2 shown]
	v_pk_add_f32 v[6:7], v[10:11], v[6:7]
	v_sub_f32_e32 v14, v4, v2
	v_pk_add_f32 v[8:9], v[2:3], v[4:5]
	v_sub_f32_e32 v10, v5, v3
	ds_bpermute_b32 v2, v19, v6
	ds_bpermute_b32 v3, v19, v7
	;; [unrolled: 1-line block ×3, first 2 shown]
	v_and_b32_e32 v18, 1, v0
	ds_bpermute_b32 v4, v19, v8
	ds_bpermute_b32 v5, v19, v9
	v_cmp_eq_u32_e64 s[4:5], 0, v18
	v_and_b32_e32 v20, 2, v0
	s_nop 0
	v_cndmask_b32_e64 v7, -v7, v7, s[4:5]
	v_cndmask_b32_e64 v6, -v6, v6, s[4:5]
	s_waitcnt lgkmcnt(3)
	v_pk_add_f32 v[2:3], v[6:7], v[2:3]
	v_cndmask_b32_e64 v6, -v12, v12, s[4:5]
	ds_bpermute_b32 v7, v19, v13
	v_cndmask_b32_e64 v9, -v9, v9, s[4:5]
	v_cndmask_b32_e64 v8, -v8, v8, s[4:5]
	s_waitcnt lgkmcnt(3)
	v_add_f32_e32 v12, v6, v11
	ds_bpermute_b32 v6, v19, v14
	s_waitcnt lgkmcnt(2)
	v_pk_add_f32 v[4:5], v[8:9], v[4:5]
	ds_bpermute_b32 v9, v19, v10
	v_cndmask_b32_e64 v8, -v13, v13, s[4:5]
	s_waitcnt lgkmcnt(2)
	v_add_f32_e32 v13, v8, v7
	v_cndmask_b32_e64 v7, -v14, v14, s[4:5]
	s_waitcnt lgkmcnt(1)
	v_add_f32_e32 v14, v7, v6
	;; [unrolled: 3-line block ×3, first 2 shown]
	ds_bpermute_b32 v6, v21, v2
	ds_bpermute_b32 v7, v21, v3
	;; [unrolled: 1-line block ×5, first 2 shown]
	v_cmp_eq_u32_e64 s[4:5], 0, v20
	s_nop 1
	v_cndmask_b32_e64 v11, -v3, v3, s[4:5]
	v_cndmask_b32_e64 v10, -v2, v2, s[4:5]
	;; [unrolled: 1-line block ×4, first 2 shown]
	s_waitcnt lgkmcnt(3)
	v_pk_add_f32 v[4:5], v[10:11], v[6:7]
	v_cndmask_b32_e64 v6, -v12, v12, s[4:5]
	ds_bpermute_b32 v7, v21, v13
	s_waitcnt lgkmcnt(3)
	v_add_f32_e32 v10, v6, v18
	ds_bpermute_b32 v6, v21, v14
	s_waitcnt lgkmcnt(2)
	v_pk_add_f32 v[2:3], v[2:3], v[8:9]
	ds_bpermute_b32 v9, v21, v15
	v_cndmask_b32_e64 v8, -v13, v13, s[4:5]
	s_waitcnt lgkmcnt(2)
	v_add_f32_e32 v11, v8, v7
	v_cndmask_b32_e64 v7, -v14, v14, s[4:5]
	s_waitcnt lgkmcnt(1)
	v_add_f32_e32 v12, v7, v6
	;; [unrolled: 3-line block ×3, first 2 shown]
	v_xor_b32_e32 v6, 4, v16
	v_cmp_lt_i32_e64 s[4:5], v6, v17
	s_nop 1
	v_cndmask_b32_e64 v6, v16, v6, s[4:5]
	v_lshlrev_b32_e32 v17, 2, v6
	ds_bpermute_b32 v6, v17, v4
	ds_bpermute_b32 v7, v17, v5
	ds_bpermute_b32 v8, v17, v2
	ds_bpermute_b32 v9, v17, v3
	ds_bpermute_b32 v14, v17, v10
	ds_bpermute_b32 v15, v17, v11
	ds_bpermute_b32 v16, v17, v12
	ds_bpermute_b32 v17, v17, v13
	s_and_saveexec_b64 s[4:5], vcc
	s_cbranch_execz .LBB16_4
; %bb.3:
	s_load_dwordx2 s[4:5], s[0:1], 0x18
	s_load_dwordx2 s[6:7], s[0:1], 0x30
	s_load_dword s8, s[0:1], 0x20
	v_and_b32_e32 v0, 4, v0
	v_cmp_eq_u32_e32 vcc, 0, v0
	s_waitcnt lgkmcnt(0)
	s_mul_i32 s0, s4, s3
	s_mul_hi_u32 s1, s4, s2
	s_mul_i32 s3, s5, s2
	s_add_i32 s0, s1, s0
	s_add_i32 s1, s0, s3
	s_mul_i32 s0, s4, s2
	v_cndmask_b32_e64 v0, -v13, v13, vcc
	v_cndmask_b32_e64 v12, -v12, v12, vcc
	;; [unrolled: 1-line block ×8, first 2 shown]
	s_lshl_b64 s[0:1], s[0:1], 1
	v_add_f32_e32 v0, v0, v17
	v_add_f32_e32 v12, v12, v16
	;; [unrolled: 1-line block ×4, first 2 shown]
	v_pk_add_f32 v[2:3], v[2:3], v[8:9]
	v_pk_add_f32 v[4:5], v[4:5], v[6:7]
	s_add_u32 s0, s6, s0
	v_mul_f32_e32 v0, s8, v0
	v_mul_f32_e32 v12, s8, v12
	;; [unrolled: 1-line block ×4, first 2 shown]
	v_pk_mul_f32 v[4:5], s[8:9], v[4:5] op_sel_hi:[0,1]
	v_pk_mul_f32 v[2:3], s[8:9], v[2:3] op_sel_hi:[0,1]
	s_addc_u32 s1, s7, s1
	v_cvt_pk_f16_f32 v3, v2, v3
	v_cvt_pk_f16_f32 v2, v4, v5
	;; [unrolled: 1-line block ×4, first 2 shown]
	global_store_dwordx4 v1, v[2:5], s[0:1]
.LBB16_4:
	s_endpgm
	.section	.rodata,"a",@progbits
	.p2align	6, 0x0
	.amdhsa_kernel _Z30fast_hadamard_transform_kernelI37fast_hadamard_transform_kernel_traitsILi8ELi6E6__halfEEv18HadamardParamsBase
		.amdhsa_group_segment_fixed_size 0
		.amdhsa_private_segment_fixed_size 0
		.amdhsa_kernarg_size 56
		.amdhsa_user_sgpr_count 2
		.amdhsa_user_sgpr_dispatch_ptr 0
		.amdhsa_user_sgpr_queue_ptr 0
		.amdhsa_user_sgpr_kernarg_segment_ptr 1
		.amdhsa_user_sgpr_dispatch_id 0
		.amdhsa_user_sgpr_kernarg_preload_length 0
		.amdhsa_user_sgpr_kernarg_preload_offset 0
		.amdhsa_user_sgpr_private_segment_size 0
		.amdhsa_uses_dynamic_stack 0
		.amdhsa_enable_private_segment 0
		.amdhsa_system_sgpr_workgroup_id_x 1
		.amdhsa_system_sgpr_workgroup_id_y 0
		.amdhsa_system_sgpr_workgroup_id_z 0
		.amdhsa_system_sgpr_workgroup_info 0
		.amdhsa_system_vgpr_workitem_id 0
		.amdhsa_next_free_vgpr 22
		.amdhsa_next_free_sgpr 12
		.amdhsa_accum_offset 24
		.amdhsa_reserve_vcc 1
		.amdhsa_float_round_mode_32 0
		.amdhsa_float_round_mode_16_64 0
		.amdhsa_float_denorm_mode_32 3
		.amdhsa_float_denorm_mode_16_64 3
		.amdhsa_dx10_clamp 1
		.amdhsa_ieee_mode 1
		.amdhsa_fp16_overflow 0
		.amdhsa_tg_split 0
		.amdhsa_exception_fp_ieee_invalid_op 0
		.amdhsa_exception_fp_denorm_src 0
		.amdhsa_exception_fp_ieee_div_zero 0
		.amdhsa_exception_fp_ieee_overflow 0
		.amdhsa_exception_fp_ieee_underflow 0
		.amdhsa_exception_fp_ieee_inexact 0
		.amdhsa_exception_int_div_zero 0
	.end_amdhsa_kernel
	.section	.text._Z30fast_hadamard_transform_kernelI37fast_hadamard_transform_kernel_traitsILi8ELi6E6__halfEEv18HadamardParamsBase,"axG",@progbits,_Z30fast_hadamard_transform_kernelI37fast_hadamard_transform_kernel_traitsILi8ELi6E6__halfEEv18HadamardParamsBase,comdat
.Lfunc_end16:
	.size	_Z30fast_hadamard_transform_kernelI37fast_hadamard_transform_kernel_traitsILi8ELi6E6__halfEEv18HadamardParamsBase, .Lfunc_end16-_Z30fast_hadamard_transform_kernelI37fast_hadamard_transform_kernel_traitsILi8ELi6E6__halfEEv18HadamardParamsBase
                                        ; -- End function
	.set _Z30fast_hadamard_transform_kernelI37fast_hadamard_transform_kernel_traitsILi8ELi6E6__halfEEv18HadamardParamsBase.num_vgpr, 22
	.set _Z30fast_hadamard_transform_kernelI37fast_hadamard_transform_kernel_traitsILi8ELi6E6__halfEEv18HadamardParamsBase.num_agpr, 0
	.set _Z30fast_hadamard_transform_kernelI37fast_hadamard_transform_kernel_traitsILi8ELi6E6__halfEEv18HadamardParamsBase.numbered_sgpr, 12
	.set _Z30fast_hadamard_transform_kernelI37fast_hadamard_transform_kernel_traitsILi8ELi6E6__halfEEv18HadamardParamsBase.num_named_barrier, 0
	.set _Z30fast_hadamard_transform_kernelI37fast_hadamard_transform_kernel_traitsILi8ELi6E6__halfEEv18HadamardParamsBase.private_seg_size, 0
	.set _Z30fast_hadamard_transform_kernelI37fast_hadamard_transform_kernel_traitsILi8ELi6E6__halfEEv18HadamardParamsBase.uses_vcc, 1
	.set _Z30fast_hadamard_transform_kernelI37fast_hadamard_transform_kernel_traitsILi8ELi6E6__halfEEv18HadamardParamsBase.uses_flat_scratch, 0
	.set _Z30fast_hadamard_transform_kernelI37fast_hadamard_transform_kernel_traitsILi8ELi6E6__halfEEv18HadamardParamsBase.has_dyn_sized_stack, 0
	.set _Z30fast_hadamard_transform_kernelI37fast_hadamard_transform_kernel_traitsILi8ELi6E6__halfEEv18HadamardParamsBase.has_recursion, 0
	.set _Z30fast_hadamard_transform_kernelI37fast_hadamard_transform_kernel_traitsILi8ELi6E6__halfEEv18HadamardParamsBase.has_indirect_call, 0
	.section	.AMDGPU.csdata,"",@progbits
; Kernel info:
; codeLenInByte = 1140
; TotalNumSgprs: 18
; NumVgprs: 22
; NumAgprs: 0
; TotalNumVgprs: 22
; ScratchSize: 0
; MemoryBound: 0
; FloatMode: 240
; IeeeMode: 1
; LDSByteSize: 0 bytes/workgroup (compile time only)
; SGPRBlocks: 2
; VGPRBlocks: 2
; NumSGPRsForWavesPerEU: 18
; NumVGPRsForWavesPerEU: 22
; AccumOffset: 24
; Occupancy: 8
; WaveLimiterHint : 0
; COMPUTE_PGM_RSRC2:SCRATCH_EN: 0
; COMPUTE_PGM_RSRC2:USER_SGPR: 2
; COMPUTE_PGM_RSRC2:TRAP_HANDLER: 0
; COMPUTE_PGM_RSRC2:TGID_X_EN: 1
; COMPUTE_PGM_RSRC2:TGID_Y_EN: 0
; COMPUTE_PGM_RSRC2:TGID_Z_EN: 0
; COMPUTE_PGM_RSRC2:TIDIG_COMP_CNT: 0
; COMPUTE_PGM_RSRC3_GFX90A:ACCUM_OFFSET: 5
; COMPUTE_PGM_RSRC3_GFX90A:TG_SPLIT: 0
	.section	.text._Z30fast_hadamard_transform_kernelI37fast_hadamard_transform_kernel_traitsILi16ELi7E6__halfEEv18HadamardParamsBase,"axG",@progbits,_Z30fast_hadamard_transform_kernelI37fast_hadamard_transform_kernel_traitsILi16ELi7E6__halfEEv18HadamardParamsBase,comdat
	.protected	_Z30fast_hadamard_transform_kernelI37fast_hadamard_transform_kernel_traitsILi16ELi7E6__halfEEv18HadamardParamsBase ; -- Begin function _Z30fast_hadamard_transform_kernelI37fast_hadamard_transform_kernel_traitsILi16ELi7E6__halfEEv18HadamardParamsBase
	.globl	_Z30fast_hadamard_transform_kernelI37fast_hadamard_transform_kernel_traitsILi16ELi7E6__halfEEv18HadamardParamsBase
	.p2align	8
	.type	_Z30fast_hadamard_transform_kernelI37fast_hadamard_transform_kernel_traitsILi16ELi7E6__halfEEv18HadamardParamsBase,@function
_Z30fast_hadamard_transform_kernelI37fast_hadamard_transform_kernel_traitsILi16ELi7E6__halfEEv18HadamardParamsBase: ; @_Z30fast_hadamard_transform_kernelI37fast_hadamard_transform_kernel_traitsILi16ELi7E6__halfEEv18HadamardParamsBase
; %bb.0:
	s_load_dword s4, s[0:1], 0x4
	v_lshlrev_b32_e32 v1, 3, v0
	v_mov_b32_e32 v2, 0
	s_ashr_i32 s3, s2, 31
	v_mov_b32_e32 v3, v2
	s_waitcnt lgkmcnt(0)
	v_cmp_gt_u32_e32 vcc, s4, v1
	v_lshlrev_b32_e32 v1, 4, v0
	v_mov_b32_e32 v4, v2
	v_mov_b32_e32 v5, v2
	;; [unrolled: 1-line block ×6, first 2 shown]
	s_and_saveexec_b64 s[4:5], vcc
	s_cbranch_execz .LBB17_2
; %bb.1:
	s_load_dwordx2 s[6:7], s[0:1], 0x10
	s_load_dwordx2 s[8:9], s[0:1], 0x28
	s_waitcnt lgkmcnt(0)
	s_mul_i32 s10, s6, s3
	s_mul_hi_u32 s11, s6, s2
	s_mul_i32 s7, s7, s2
	s_add_i32 s10, s11, s10
	s_mul_i32 s6, s6, s2
	s_add_i32 s7, s10, s7
	s_lshl_b64 s[6:7], s[6:7], 1
	s_add_u32 s6, s8, s6
	s_addc_u32 s7, s9, s7
	global_load_dwordx4 v[10:13], v1, s[6:7]
	s_waitcnt vmcnt(0)
	v_cvt_f32_f16_e32 v8, v10
	v_cvt_f32_f16_sdwa v9, v10 dst_sel:DWORD dst_unused:UNUSED_PAD src0_sel:WORD_1
	v_cvt_f32_f16_e32 v6, v11
	v_cvt_f32_f16_sdwa v7, v11 dst_sel:DWORD dst_unused:UNUSED_PAD src0_sel:WORD_1
	;; [unrolled: 2-line block ×4, first 2 shown]
.LBB17_2:
	s_or_b64 exec, exec, s[4:5]
	v_pk_add_f32 v[10:11], v[8:9], v[8:9] op_sel:[0,1]
	v_pk_add_f32 v[8:9], v[8:9], v[8:9] op_sel_hi:[0,1] neg_lo:[0,1] neg_hi:[0,1]
	v_mov_b32_e32 v11, v9
	v_pk_add_f32 v[8:9], v[6:7], v[6:7] op_sel:[0,1]
	v_pk_add_f32 v[6:7], v[6:7], v[6:7] op_sel_hi:[0,1] neg_lo:[0,1] neg_hi:[0,1]
	v_mov_b32_e32 v9, v7
	;; [unrolled: 3-line block ×3, first 2 shown]
	v_pk_add_f32 v[4:5], v[2:3], v[2:3] op_sel:[0,1]
	v_pk_add_f32 v[2:3], v[2:3], v[2:3] op_sel_hi:[0,1] neg_lo:[0,1] neg_hi:[0,1]
	v_mbcnt_lo_u32_b32 v2, -1, 0
	v_mbcnt_hi_u32_b32 v18, -1, v2
	v_and_b32_e32 v2, 64, v18
	v_add_u32_e32 v19, 64, v2
	v_xor_b32_e32 v2, 1, v18
	v_cmp_lt_i32_e64 s[4:5], v2, v19
	v_mov_b32_e32 v5, v3
	v_and_b32_e32 v14, 1, v0
	v_cndmask_b32_e64 v2, v18, v2, s[4:5]
	v_lshlrev_b32_e32 v20, 2, v2
	v_xor_b32_e32 v2, 2, v18
	v_cmp_lt_i32_e64 s[4:5], v2, v19
	v_and_b32_e32 v21, 2, v0
	v_cmp_eq_u32_e64 s[6:7], 0, v21
	v_cndmask_b32_e64 v2, v18, v2, s[4:5]
	v_lshlrev_b32_e32 v22, 2, v2
	v_xor_b32_e32 v2, 4, v18
	v_cmp_lt_i32_e64 s[4:5], v2, v19
	v_and_b32_e32 v23, 4, v0
	s_nop 0
	v_cndmask_b32_e64 v2, v18, v2, s[4:5]
	v_lshlrev_b32_e32 v24, 2, v2
	v_pk_add_f32 v[2:3], v[8:9], v[10:11]
	v_pk_add_f32 v[8:9], v[10:11], v[8:9] neg_lo:[0,1] neg_hi:[0,1]
	v_pk_add_f32 v[10:11], v[4:5], v[6:7]
	v_pk_add_f32 v[4:5], v[6:7], v[4:5] neg_lo:[0,1] neg_hi:[0,1]
	v_sub_f32_e32 v15, v3, v11
	v_sub_f32_e32 v16, v9, v5
	;; [unrolled: 1-line block ×4, first 2 shown]
	v_pk_add_f32 v[2:3], v[10:11], v[2:3]
	v_pk_add_f32 v[4:5], v[4:5], v[8:9]
	ds_bpermute_b32 v10, v20, v2
	ds_bpermute_b32 v11, v20, v3
	;; [unrolled: 1-line block ×4, first 2 shown]
	v_cmp_eq_u32_e64 s[4:5], 0, v14
	ds_bpermute_b32 v6, v20, v17
	ds_bpermute_b32 v7, v20, v15
	v_cndmask_b32_e64 v3, -v3, v3, s[4:5]
	v_cndmask_b32_e64 v2, -v2, v2, s[4:5]
	;; [unrolled: 1-line block ×4, first 2 shown]
	s_waitcnt lgkmcnt(2)
	v_pk_add_f32 v[4:5], v[4:5], v[8:9]
	v_pk_add_f32 v[2:3], v[2:3], v[10:11]
	ds_bpermute_b32 v8, v22, v2
	ds_bpermute_b32 v9, v22, v3
	ds_bpermute_b32 v10, v22, v4
	ds_bpermute_b32 v11, v22, v5
	ds_bpermute_b32 v12, v20, v25
	ds_bpermute_b32 v13, v20, v16
	v_cndmask_b32_e64 v15, -v15, v15, s[4:5]
	v_cndmask_b32_e64 v14, -v17, v17, s[4:5]
	s_waitcnt lgkmcnt(6)
	v_pk_add_f32 v[6:7], v[14:15], v[6:7]
	v_cndmask_b32_e64 v3, -v3, v3, s[6:7]
	v_cndmask_b32_e64 v2, -v2, v2, s[6:7]
	;; [unrolled: 1-line block ×4, first 2 shown]
	ds_bpermute_b32 v14, v22, v6
	ds_bpermute_b32 v15, v22, v7
	s_waitcnt lgkmcnt(4)
	v_pk_add_f32 v[4:5], v[4:5], v[10:11]
	v_pk_add_f32 v[2:3], v[2:3], v[8:9]
	v_cndmask_b32_e64 v17, -v16, v16, s[4:5]
	v_cndmask_b32_e64 v16, -v25, v25, s[4:5]
	ds_bpermute_b32 v8, v24, v2
	ds_bpermute_b32 v9, v24, v3
	;; [unrolled: 1-line block ×4, first 2 shown]
	s_waitcnt lgkmcnt(6)
	v_pk_add_f32 v[12:13], v[16:17], v[12:13]
	ds_bpermute_b32 v16, v22, v12
	ds_bpermute_b32 v17, v22, v13
	v_cndmask_b32_e64 v7, -v7, v7, s[6:7]
	v_cndmask_b32_e64 v6, -v6, v6, s[6:7]
	v_cmp_eq_u32_e64 s[4:5], 0, v23
	s_waitcnt lgkmcnt(6)
	v_pk_add_f32 v[6:7], v[6:7], v[14:15]
	v_cndmask_b32_e64 v13, -v13, v13, s[6:7]
	v_cndmask_b32_e64 v3, -v3, v3, s[4:5]
	;; [unrolled: 1-line block ×5, first 2 shown]
	s_waitcnt lgkmcnt(2)
	v_pk_add_f32 v[4:5], v[4:5], v[10:11]
	v_pk_add_f32 v[10:11], v[2:3], v[8:9]
	ds_bpermute_b32 v8, v24, v6
	ds_bpermute_b32 v9, v24, v7
	v_cndmask_b32_e64 v12, -v12, v12, s[6:7]
	s_waitcnt lgkmcnt(2)
	v_pk_add_f32 v[12:13], v[12:13], v[16:17]
	ds_bpermute_b32 v2, v24, v12
	ds_bpermute_b32 v3, v24, v13
	v_cndmask_b32_e64 v7, -v7, v7, s[4:5]
	v_cndmask_b32_e64 v6, -v6, v6, s[4:5]
	s_waitcnt lgkmcnt(2)
	v_pk_add_f32 v[8:9], v[6:7], v[8:9]
	v_xor_b32_e32 v6, 8, v18
	v_cndmask_b32_e64 v13, -v13, v13, s[4:5]
	v_cndmask_b32_e64 v12, -v12, v12, s[4:5]
	v_cmp_lt_i32_e64 s[4:5], v6, v19
	s_waitcnt lgkmcnt(0)
	v_pk_add_f32 v[2:3], v[12:13], v[2:3]
	v_cndmask_b32_e64 v6, v18, v6, s[4:5]
	v_lshlrev_b32_e32 v13, 2, v6
	ds_bpermute_b32 v14, v13, v10
	ds_bpermute_b32 v15, v13, v11
	;; [unrolled: 1-line block ×8, first 2 shown]
	s_and_saveexec_b64 s[4:5], vcc
	s_cbranch_execz .LBB17_4
; %bb.3:
	s_load_dwordx2 s[4:5], s[0:1], 0x18
	s_load_dwordx2 s[6:7], s[0:1], 0x30
	s_load_dword s8, s[0:1], 0x20
	v_and_b32_e32 v0, 8, v0
	v_cmp_eq_u32_e32 vcc, 0, v0
	s_waitcnt lgkmcnt(0)
	s_mul_i32 s0, s4, s3
	s_mul_hi_u32 s1, s4, s2
	s_mul_i32 s3, s5, s2
	s_add_i32 s0, s1, s0
	s_add_i32 s1, s0, s3
	s_mul_i32 s0, s4, s2
	v_cndmask_b32_e64 v11, -v11, v11, vcc
	v_cndmask_b32_e64 v10, -v10, v10, vcc
	;; [unrolled: 1-line block ×8, first 2 shown]
	s_lshl_b64 s[0:1], s[0:1], 1
	v_pk_add_f32 v[4:5], v[4:5], v[16:17]
	v_pk_add_f32 v[10:11], v[10:11], v[14:15]
	;; [unrolled: 1-line block ×4, first 2 shown]
	s_add_u32 s0, s6, s0
	v_pk_mul_f32 v[10:11], s[8:9], v[10:11] op_sel_hi:[0,1]
	v_pk_mul_f32 v[4:5], s[8:9], v[4:5] op_sel_hi:[0,1]
	;; [unrolled: 1-line block ×4, first 2 shown]
	s_addc_u32 s1, s7, s1
	v_cvt_pk_f16_f32 v5, v4, v5
	v_cvt_pk_f16_f32 v4, v10, v11
	;; [unrolled: 1-line block ×4, first 2 shown]
	global_store_dwordx4 v1, v[4:7], s[0:1]
.LBB17_4:
	s_endpgm
	.section	.rodata,"a",@progbits
	.p2align	6, 0x0
	.amdhsa_kernel _Z30fast_hadamard_transform_kernelI37fast_hadamard_transform_kernel_traitsILi16ELi7E6__halfEEv18HadamardParamsBase
		.amdhsa_group_segment_fixed_size 0
		.amdhsa_private_segment_fixed_size 0
		.amdhsa_kernarg_size 56
		.amdhsa_user_sgpr_count 2
		.amdhsa_user_sgpr_dispatch_ptr 0
		.amdhsa_user_sgpr_queue_ptr 0
		.amdhsa_user_sgpr_kernarg_segment_ptr 1
		.amdhsa_user_sgpr_dispatch_id 0
		.amdhsa_user_sgpr_kernarg_preload_length 0
		.amdhsa_user_sgpr_kernarg_preload_offset 0
		.amdhsa_user_sgpr_private_segment_size 0
		.amdhsa_uses_dynamic_stack 0
		.amdhsa_enable_private_segment 0
		.amdhsa_system_sgpr_workgroup_id_x 1
		.amdhsa_system_sgpr_workgroup_id_y 0
		.amdhsa_system_sgpr_workgroup_id_z 0
		.amdhsa_system_sgpr_workgroup_info 0
		.amdhsa_system_vgpr_workitem_id 0
		.amdhsa_next_free_vgpr 26
		.amdhsa_next_free_sgpr 12
		.amdhsa_accum_offset 28
		.amdhsa_reserve_vcc 1
		.amdhsa_float_round_mode_32 0
		.amdhsa_float_round_mode_16_64 0
		.amdhsa_float_denorm_mode_32 3
		.amdhsa_float_denorm_mode_16_64 3
		.amdhsa_dx10_clamp 1
		.amdhsa_ieee_mode 1
		.amdhsa_fp16_overflow 0
		.amdhsa_tg_split 0
		.amdhsa_exception_fp_ieee_invalid_op 0
		.amdhsa_exception_fp_denorm_src 0
		.amdhsa_exception_fp_ieee_div_zero 0
		.amdhsa_exception_fp_ieee_overflow 0
		.amdhsa_exception_fp_ieee_underflow 0
		.amdhsa_exception_fp_ieee_inexact 0
		.amdhsa_exception_int_div_zero 0
	.end_amdhsa_kernel
	.section	.text._Z30fast_hadamard_transform_kernelI37fast_hadamard_transform_kernel_traitsILi16ELi7E6__halfEEv18HadamardParamsBase,"axG",@progbits,_Z30fast_hadamard_transform_kernelI37fast_hadamard_transform_kernel_traitsILi16ELi7E6__halfEEv18HadamardParamsBase,comdat
.Lfunc_end17:
	.size	_Z30fast_hadamard_transform_kernelI37fast_hadamard_transform_kernel_traitsILi16ELi7E6__halfEEv18HadamardParamsBase, .Lfunc_end17-_Z30fast_hadamard_transform_kernelI37fast_hadamard_transform_kernel_traitsILi16ELi7E6__halfEEv18HadamardParamsBase
                                        ; -- End function
	.set _Z30fast_hadamard_transform_kernelI37fast_hadamard_transform_kernel_traitsILi16ELi7E6__halfEEv18HadamardParamsBase.num_vgpr, 26
	.set _Z30fast_hadamard_transform_kernelI37fast_hadamard_transform_kernel_traitsILi16ELi7E6__halfEEv18HadamardParamsBase.num_agpr, 0
	.set _Z30fast_hadamard_transform_kernelI37fast_hadamard_transform_kernel_traitsILi16ELi7E6__halfEEv18HadamardParamsBase.numbered_sgpr, 12
	.set _Z30fast_hadamard_transform_kernelI37fast_hadamard_transform_kernel_traitsILi16ELi7E6__halfEEv18HadamardParamsBase.num_named_barrier, 0
	.set _Z30fast_hadamard_transform_kernelI37fast_hadamard_transform_kernel_traitsILi16ELi7E6__halfEEv18HadamardParamsBase.private_seg_size, 0
	.set _Z30fast_hadamard_transform_kernelI37fast_hadamard_transform_kernel_traitsILi16ELi7E6__halfEEv18HadamardParamsBase.uses_vcc, 1
	.set _Z30fast_hadamard_transform_kernelI37fast_hadamard_transform_kernel_traitsILi16ELi7E6__halfEEv18HadamardParamsBase.uses_flat_scratch, 0
	.set _Z30fast_hadamard_transform_kernelI37fast_hadamard_transform_kernel_traitsILi16ELi7E6__halfEEv18HadamardParamsBase.has_dyn_sized_stack, 0
	.set _Z30fast_hadamard_transform_kernelI37fast_hadamard_transform_kernel_traitsILi16ELi7E6__halfEEv18HadamardParamsBase.has_recursion, 0
	.set _Z30fast_hadamard_transform_kernelI37fast_hadamard_transform_kernel_traitsILi16ELi7E6__halfEEv18HadamardParamsBase.has_indirect_call, 0
	.section	.AMDGPU.csdata,"",@progbits
; Kernel info:
; codeLenInByte = 1324
; TotalNumSgprs: 18
; NumVgprs: 26
; NumAgprs: 0
; TotalNumVgprs: 26
; ScratchSize: 0
; MemoryBound: 0
; FloatMode: 240
; IeeeMode: 1
; LDSByteSize: 0 bytes/workgroup (compile time only)
; SGPRBlocks: 2
; VGPRBlocks: 3
; NumSGPRsForWavesPerEU: 18
; NumVGPRsForWavesPerEU: 26
; AccumOffset: 28
; Occupancy: 8
; WaveLimiterHint : 0
; COMPUTE_PGM_RSRC2:SCRATCH_EN: 0
; COMPUTE_PGM_RSRC2:USER_SGPR: 2
; COMPUTE_PGM_RSRC2:TRAP_HANDLER: 0
; COMPUTE_PGM_RSRC2:TGID_X_EN: 1
; COMPUTE_PGM_RSRC2:TGID_Y_EN: 0
; COMPUTE_PGM_RSRC2:TGID_Z_EN: 0
; COMPUTE_PGM_RSRC2:TIDIG_COMP_CNT: 0
; COMPUTE_PGM_RSRC3_GFX90A:ACCUM_OFFSET: 6
; COMPUTE_PGM_RSRC3_GFX90A:TG_SPLIT: 0
	.section	.text._Z30fast_hadamard_transform_kernelI37fast_hadamard_transform_kernel_traitsILi32ELi8E6__halfEEv18HadamardParamsBase,"axG",@progbits,_Z30fast_hadamard_transform_kernelI37fast_hadamard_transform_kernel_traitsILi32ELi8E6__halfEEv18HadamardParamsBase,comdat
	.protected	_Z30fast_hadamard_transform_kernelI37fast_hadamard_transform_kernel_traitsILi32ELi8E6__halfEEv18HadamardParamsBase ; -- Begin function _Z30fast_hadamard_transform_kernelI37fast_hadamard_transform_kernel_traitsILi32ELi8E6__halfEEv18HadamardParamsBase
	.globl	_Z30fast_hadamard_transform_kernelI37fast_hadamard_transform_kernel_traitsILi32ELi8E6__halfEEv18HadamardParamsBase
	.p2align	8
	.type	_Z30fast_hadamard_transform_kernelI37fast_hadamard_transform_kernel_traitsILi32ELi8E6__halfEEv18HadamardParamsBase,@function
_Z30fast_hadamard_transform_kernelI37fast_hadamard_transform_kernel_traitsILi32ELi8E6__halfEEv18HadamardParamsBase: ; @_Z30fast_hadamard_transform_kernelI37fast_hadamard_transform_kernel_traitsILi32ELi8E6__halfEEv18HadamardParamsBase
; %bb.0:
	s_load_dword s4, s[0:1], 0x4
	v_lshlrev_b32_e32 v1, 3, v0
	v_mov_b32_e32 v3, 0
	s_ashr_i32 s3, s2, 31
	v_mov_b32_e32 v7, 0
	s_waitcnt lgkmcnt(0)
	v_cmp_gt_u32_e32 vcc, s4, v1
	v_lshlrev_b32_e32 v1, 4, v0
	v_mov_b32_e32 v5, 0
	v_mov_b32_e32 v9, 0
	;; [unrolled: 1-line block ×6, first 2 shown]
	s_and_saveexec_b64 s[4:5], vcc
	s_cbranch_execz .LBB18_2
; %bb.1:
	s_load_dwordx2 s[6:7], s[0:1], 0x10
	s_load_dwordx2 s[8:9], s[0:1], 0x28
	s_waitcnt lgkmcnt(0)
	s_mul_i32 s10, s6, s3
	s_mul_hi_u32 s11, s6, s2
	s_mul_i32 s7, s7, s2
	s_add_i32 s10, s11, s10
	s_mul_i32 s6, s6, s2
	s_add_i32 s7, s10, s7
	s_lshl_b64 s[6:7], s[6:7], 1
	s_add_u32 s6, s8, s6
	s_addc_u32 s7, s9, s7
	global_load_dwordx4 v[8:11], v1, s[6:7]
	s_waitcnt vmcnt(0)
	v_cvt_f32_f16_e32 v4, v8
	v_cvt_f32_f16_sdwa v8, v8 dst_sel:DWORD dst_unused:UNUSED_PAD src0_sel:WORD_1
	v_cvt_f32_f16_e32 v2, v9
	v_cvt_f32_f16_sdwa v6, v9 dst_sel:DWORD dst_unused:UNUSED_PAD src0_sel:WORD_1
	;; [unrolled: 2-line block ×4, first 2 shown]
.LBB18_2:
	s_or_b64 exec, exec, s[4:5]
	v_pk_add_f32 v[10:11], v[8:9], v[4:5]
	v_pk_add_f32 v[12:13], v[6:7], v[2:3]
	v_pk_add_f32 v[4:5], v[4:5], v[8:9] neg_lo:[0,1] neg_hi:[0,1]
	v_pk_add_f32 v[2:3], v[2:3], v[6:7] neg_lo:[0,1] neg_hi:[0,1]
	v_pk_add_f32 v[14:15], v[12:13], v[10:11]
	v_pk_add_f32 v[6:7], v[2:3], v[4:5]
	v_pk_add_f32 v[2:3], v[4:5], v[2:3] neg_lo:[0,1] neg_hi:[0,1]
	v_pk_add_f32 v[10:11], v[10:11], v[12:13] neg_lo:[0,1] neg_hi:[0,1]
	v_add_f32_e32 v18, v3, v2
	v_sub_f32_e32 v19, v2, v3
	v_mbcnt_lo_u32_b32 v2, -1, 0
	v_mbcnt_hi_u32_b32 v20, -1, v2
	v_and_b32_e32 v2, 64, v20
	v_add_u32_e32 v21, 64, v2
	v_xor_b32_e32 v2, 1, v20
	v_cmp_lt_i32_e64 s[4:5], v2, v21
	v_add_f32_e32 v12, v15, v14
	v_add_f32_e32 v13, v7, v6
	v_cndmask_b32_e64 v2, v20, v2, s[4:5]
	v_add_f32_e32 v16, v11, v10
	v_lshlrev_b32_e32 v9, 2, v2
	v_sub_f32_e32 v17, v10, v11
	v_and_b32_e32 v10, 1, v0
	ds_bpermute_b32 v2, v9, v12
	ds_bpermute_b32 v3, v9, v13
	;; [unrolled: 1-line block ×4, first 2 shown]
	v_cmp_eq_u32_e64 s[4:5], 0, v10
	v_sub_f32_e32 v14, v14, v15
	v_sub_f32_e32 v15, v6, v7
	v_cndmask_b32_e64 v11, -v13, v13, s[4:5]
	v_cndmask_b32_e64 v13, -v18, v18, s[4:5]
	v_xor_b32_e32 v18, 2, v20
	ds_bpermute_b32 v6, v9, v14
	ds_bpermute_b32 v7, v9, v15
	ds_bpermute_b32 v8, v9, v17
	v_cndmask_b32_e64 v10, -v12, v12, s[4:5]
	v_cndmask_b32_e64 v12, -v16, v16, s[4:5]
	;; [unrolled: 1-line block ×6, first 2 shown]
	v_cmp_lt_i32_e64 s[4:5], v18, v21
	s_waitcnt lgkmcnt(3)
	v_pk_add_f32 v[4:5], v[12:13], v[4:5]
	v_pk_add_f32 v[2:3], v[10:11], v[2:3]
	v_cndmask_b32_e64 v18, v20, v18, s[4:5]
	v_lshlrev_b32_e32 v23, 2, v18
	ds_bpermute_b32 v9, v9, v19
	v_xor_b32_e32 v19, 4, v20
	ds_bpermute_b32 v10, v23, v2
	ds_bpermute_b32 v11, v23, v3
	;; [unrolled: 1-line block ×4, first 2 shown]
	v_cmp_lt_i32_e64 s[4:5], v19, v21
	v_xor_b32_e32 v25, 8, v20
	v_and_b32_e32 v22, 2, v0
	v_cndmask_b32_e64 v19, v20, v19, s[4:5]
	v_cmp_lt_i32_e64 s[4:5], v25, v21
	v_lshlrev_b32_e32 v24, 2, v19
	v_and_b32_e32 v18, 4, v0
	v_cndmask_b32_e64 v25, v20, v25, s[4:5]
	v_cmp_eq_u32_e64 s[4:5], 0, v22
	v_cmp_eq_u32_e64 s[6:7], 0, v18
	v_lshlrev_b32_e32 v25, 2, v25
	v_cndmask_b32_e64 v3, -v3, v3, s[4:5]
	v_cndmask_b32_e64 v2, -v2, v2, s[4:5]
	;; [unrolled: 1-line block ×4, first 2 shown]
	s_waitcnt lgkmcnt(0)
	v_pk_add_f32 v[4:5], v[4:5], v[12:13]
	v_pk_add_f32 v[2:3], v[2:3], v[10:11]
	ds_bpermute_b32 v10, v24, v2
	ds_bpermute_b32 v11, v24, v3
	;; [unrolled: 1-line block ×4, first 2 shown]
	v_cndmask_b32_e64 v3, -v3, v3, s[6:7]
	v_cndmask_b32_e64 v2, -v2, v2, s[6:7]
	;; [unrolled: 1-line block ×4, first 2 shown]
	s_waitcnt lgkmcnt(0)
	v_pk_add_f32 v[4:5], v[4:5], v[12:13]
	v_pk_add_f32 v[2:3], v[2:3], v[10:11]
	ds_bpermute_b32 v10, v25, v2
	ds_bpermute_b32 v11, v25, v3
	;; [unrolled: 1-line block ×4, first 2 shown]
	v_and_b32_e32 v19, 8, v0
	v_cmp_eq_u32_e64 s[8:9], 0, v19
	v_pk_add_f32 v[8:9], v[16:17], v[8:9]
	v_pk_add_f32 v[6:7], v[14:15], v[6:7]
	v_cndmask_b32_e64 v19, -v3, v3, s[8:9]
	v_cndmask_b32_e64 v18, -v2, v2, s[8:9]
	v_cndmask_b32_e64 v3, -v5, v5, s[8:9]
	v_cndmask_b32_e64 v2, -v4, v4, s[8:9]
	s_waitcnt lgkmcnt(0)
	v_pk_add_f32 v[2:3], v[2:3], v[12:13]
	v_pk_add_f32 v[4:5], v[18:19], v[10:11]
	ds_bpermute_b32 v10, v23, v6
	ds_bpermute_b32 v11, v23, v7
	ds_bpermute_b32 v12, v23, v8
	ds_bpermute_b32 v13, v23, v9
	v_cndmask_b32_e64 v7, -v7, v7, s[4:5]
	v_cndmask_b32_e64 v6, -v6, v6, s[4:5]
	v_cndmask_b32_e64 v9, -v9, v9, s[4:5]
	v_cndmask_b32_e64 v8, -v8, v8, s[4:5]
	s_waitcnt lgkmcnt(0)
	v_pk_add_f32 v[8:9], v[8:9], v[12:13]
	v_pk_add_f32 v[6:7], v[6:7], v[10:11]
	ds_bpermute_b32 v10, v24, v6
	ds_bpermute_b32 v11, v24, v7
	ds_bpermute_b32 v12, v24, v8
	ds_bpermute_b32 v13, v24, v9
	;; [unrolled: 11-line block ×3, first 2 shown]
	v_cndmask_b32_e64 v14, -v6, v6, s[8:9]
	v_cndmask_b32_e64 v6, -v8, v8, s[8:9]
	v_xor_b32_e32 v8, 16, v20
	v_cmp_lt_i32_e64 s[4:5], v8, v21
	v_cndmask_b32_e64 v15, -v7, v7, s[8:9]
	v_cndmask_b32_e64 v7, -v9, v9, s[8:9]
	v_cndmask_b32_e64 v8, v20, v8, s[4:5]
	s_waitcnt lgkmcnt(0)
	v_pk_add_f32 v[6:7], v[6:7], v[12:13]
	v_pk_add_f32 v[10:11], v[14:15], v[10:11]
	v_lshlrev_b32_e32 v13, 2, v8
	ds_bpermute_b32 v14, v13, v4
	ds_bpermute_b32 v15, v13, v5
	;; [unrolled: 1-line block ×8, first 2 shown]
	s_and_saveexec_b64 s[4:5], vcc
	s_cbranch_execz .LBB18_4
; %bb.3:
	s_load_dwordx2 s[4:5], s[0:1], 0x18
	s_load_dwordx2 s[6:7], s[0:1], 0x30
	s_load_dword s8, s[0:1], 0x20
	v_and_b32_e32 v0, 16, v0
	v_cmp_eq_u32_e32 vcc, 0, v0
	s_waitcnt lgkmcnt(0)
	s_mul_i32 s0, s4, s3
	s_mul_hi_u32 s1, s4, s2
	v_cndmask_b32_e64 v5, -v5, v5, vcc
	v_cndmask_b32_e64 v4, -v4, v4, vcc
	;; [unrolled: 1-line block ×4, first 2 shown]
	v_pk_add_f32 v[2:3], v[2:3], v[16:17]
	v_pk_add_f32 v[4:5], v[4:5], v[14:15]
	s_mul_i32 s3, s5, s2
	s_add_i32 s0, s1, s0
	v_pk_mul_f32 v[4:5], s[8:9], v[4:5] op_sel_hi:[0,1]
	v_pk_mul_f32 v[2:3], s[8:9], v[2:3] op_sel_hi:[0,1]
	s_add_i32 s1, s0, s3
	s_mul_i32 s0, s4, s2
	v_cvt_pk_f16_f32 v3, v2, v3
	v_cvt_pk_f16_f32 v2, v4, v5
	v_cndmask_b32_e64 v5, -v11, v11, vcc
	v_cndmask_b32_e64 v4, -v10, v10, vcc
	;; [unrolled: 1-line block ×4, first 2 shown]
	s_lshl_b64 s[0:1], s[0:1], 1
	v_pk_add_f32 v[6:7], v[6:7], v[12:13]
	v_pk_add_f32 v[4:5], v[4:5], v[8:9]
	s_add_u32 s0, s6, s0
	v_pk_mul_f32 v[8:9], s[8:9], v[4:5] op_sel_hi:[0,1]
	v_pk_mul_f32 v[4:5], s[8:9], v[6:7] op_sel_hi:[0,1]
	s_addc_u32 s1, s7, s1
	v_cvt_pk_f16_f32 v5, v4, v5
	v_cvt_pk_f16_f32 v4, v8, v9
	global_store_dwordx4 v1, v[2:5], s[0:1]
.LBB18_4:
	s_endpgm
	.section	.rodata,"a",@progbits
	.p2align	6, 0x0
	.amdhsa_kernel _Z30fast_hadamard_transform_kernelI37fast_hadamard_transform_kernel_traitsILi32ELi8E6__halfEEv18HadamardParamsBase
		.amdhsa_group_segment_fixed_size 0
		.amdhsa_private_segment_fixed_size 0
		.amdhsa_kernarg_size 56
		.amdhsa_user_sgpr_count 2
		.amdhsa_user_sgpr_dispatch_ptr 0
		.amdhsa_user_sgpr_queue_ptr 0
		.amdhsa_user_sgpr_kernarg_segment_ptr 1
		.amdhsa_user_sgpr_dispatch_id 0
		.amdhsa_user_sgpr_kernarg_preload_length 0
		.amdhsa_user_sgpr_kernarg_preload_offset 0
		.amdhsa_user_sgpr_private_segment_size 0
		.amdhsa_uses_dynamic_stack 0
		.amdhsa_enable_private_segment 0
		.amdhsa_system_sgpr_workgroup_id_x 1
		.amdhsa_system_sgpr_workgroup_id_y 0
		.amdhsa_system_sgpr_workgroup_id_z 0
		.amdhsa_system_sgpr_workgroup_info 0
		.amdhsa_system_vgpr_workitem_id 0
		.amdhsa_next_free_vgpr 26
		.amdhsa_next_free_sgpr 12
		.amdhsa_accum_offset 28
		.amdhsa_reserve_vcc 1
		.amdhsa_float_round_mode_32 0
		.amdhsa_float_round_mode_16_64 0
		.amdhsa_float_denorm_mode_32 3
		.amdhsa_float_denorm_mode_16_64 3
		.amdhsa_dx10_clamp 1
		.amdhsa_ieee_mode 1
		.amdhsa_fp16_overflow 0
		.amdhsa_tg_split 0
		.amdhsa_exception_fp_ieee_invalid_op 0
		.amdhsa_exception_fp_denorm_src 0
		.amdhsa_exception_fp_ieee_div_zero 0
		.amdhsa_exception_fp_ieee_overflow 0
		.amdhsa_exception_fp_ieee_underflow 0
		.amdhsa_exception_fp_ieee_inexact 0
		.amdhsa_exception_int_div_zero 0
	.end_amdhsa_kernel
	.section	.text._Z30fast_hadamard_transform_kernelI37fast_hadamard_transform_kernel_traitsILi32ELi8E6__halfEEv18HadamardParamsBase,"axG",@progbits,_Z30fast_hadamard_transform_kernelI37fast_hadamard_transform_kernel_traitsILi32ELi8E6__halfEEv18HadamardParamsBase,comdat
.Lfunc_end18:
	.size	_Z30fast_hadamard_transform_kernelI37fast_hadamard_transform_kernel_traitsILi32ELi8E6__halfEEv18HadamardParamsBase, .Lfunc_end18-_Z30fast_hadamard_transform_kernelI37fast_hadamard_transform_kernel_traitsILi32ELi8E6__halfEEv18HadamardParamsBase
                                        ; -- End function
	.set _Z30fast_hadamard_transform_kernelI37fast_hadamard_transform_kernel_traitsILi32ELi8E6__halfEEv18HadamardParamsBase.num_vgpr, 26
	.set _Z30fast_hadamard_transform_kernelI37fast_hadamard_transform_kernel_traitsILi32ELi8E6__halfEEv18HadamardParamsBase.num_agpr, 0
	.set _Z30fast_hadamard_transform_kernelI37fast_hadamard_transform_kernel_traitsILi32ELi8E6__halfEEv18HadamardParamsBase.numbered_sgpr, 12
	.set _Z30fast_hadamard_transform_kernelI37fast_hadamard_transform_kernel_traitsILi32ELi8E6__halfEEv18HadamardParamsBase.num_named_barrier, 0
	.set _Z30fast_hadamard_transform_kernelI37fast_hadamard_transform_kernel_traitsILi32ELi8E6__halfEEv18HadamardParamsBase.private_seg_size, 0
	.set _Z30fast_hadamard_transform_kernelI37fast_hadamard_transform_kernel_traitsILi32ELi8E6__halfEEv18HadamardParamsBase.uses_vcc, 1
	.set _Z30fast_hadamard_transform_kernelI37fast_hadamard_transform_kernel_traitsILi32ELi8E6__halfEEv18HadamardParamsBase.uses_flat_scratch, 0
	.set _Z30fast_hadamard_transform_kernelI37fast_hadamard_transform_kernel_traitsILi32ELi8E6__halfEEv18HadamardParamsBase.has_dyn_sized_stack, 0
	.set _Z30fast_hadamard_transform_kernelI37fast_hadamard_transform_kernel_traitsILi32ELi8E6__halfEEv18HadamardParamsBase.has_recursion, 0
	.set _Z30fast_hadamard_transform_kernelI37fast_hadamard_transform_kernel_traitsILi32ELi8E6__halfEEv18HadamardParamsBase.has_indirect_call, 0
	.section	.AMDGPU.csdata,"",@progbits
; Kernel info:
; codeLenInByte = 1460
; TotalNumSgprs: 18
; NumVgprs: 26
; NumAgprs: 0
; TotalNumVgprs: 26
; ScratchSize: 0
; MemoryBound: 0
; FloatMode: 240
; IeeeMode: 1
; LDSByteSize: 0 bytes/workgroup (compile time only)
; SGPRBlocks: 2
; VGPRBlocks: 3
; NumSGPRsForWavesPerEU: 18
; NumVGPRsForWavesPerEU: 26
; AccumOffset: 28
; Occupancy: 8
; WaveLimiterHint : 0
; COMPUTE_PGM_RSRC2:SCRATCH_EN: 0
; COMPUTE_PGM_RSRC2:USER_SGPR: 2
; COMPUTE_PGM_RSRC2:TRAP_HANDLER: 0
; COMPUTE_PGM_RSRC2:TGID_X_EN: 1
; COMPUTE_PGM_RSRC2:TGID_Y_EN: 0
; COMPUTE_PGM_RSRC2:TGID_Z_EN: 0
; COMPUTE_PGM_RSRC2:TIDIG_COMP_CNT: 0
; COMPUTE_PGM_RSRC3_GFX90A:ACCUM_OFFSET: 6
; COMPUTE_PGM_RSRC3_GFX90A:TG_SPLIT: 0
	.section	.text._Z30fast_hadamard_transform_kernelI37fast_hadamard_transform_kernel_traitsILi32ELi9E6__halfEEv18HadamardParamsBase,"axG",@progbits,_Z30fast_hadamard_transform_kernelI37fast_hadamard_transform_kernel_traitsILi32ELi9E6__halfEEv18HadamardParamsBase,comdat
	.protected	_Z30fast_hadamard_transform_kernelI37fast_hadamard_transform_kernel_traitsILi32ELi9E6__halfEEv18HadamardParamsBase ; -- Begin function _Z30fast_hadamard_transform_kernelI37fast_hadamard_transform_kernel_traitsILi32ELi9E6__halfEEv18HadamardParamsBase
	.globl	_Z30fast_hadamard_transform_kernelI37fast_hadamard_transform_kernel_traitsILi32ELi9E6__halfEEv18HadamardParamsBase
	.p2align	8
	.type	_Z30fast_hadamard_transform_kernelI37fast_hadamard_transform_kernel_traitsILi32ELi9E6__halfEEv18HadamardParamsBase,@function
_Z30fast_hadamard_transform_kernelI37fast_hadamard_transform_kernel_traitsILi32ELi9E6__halfEEv18HadamardParamsBase: ; @_Z30fast_hadamard_transform_kernelI37fast_hadamard_transform_kernel_traitsILi32ELi9E6__halfEEv18HadamardParamsBase
; %bb.0:
	s_load_dwordx4 s[8:11], s[0:1], 0x10
	s_load_dword s13, s[0:1], 0x4
	s_load_dwordx4 s[4:7], s[0:1], 0x28
	s_ashr_i32 s3, s2, 31
	v_lshlrev_b32_e32 v1, 3, v0
	s_waitcnt lgkmcnt(0)
	s_mul_hi_u32 s12, s8, s2
	s_mul_i32 s14, s8, s3
	s_add_i32 s12, s12, s14
	s_mul_i32 s9, s9, s2
	s_load_dword s14, s[0:1], 0x44
	s_add_i32 s9, s12, s9
	s_mul_i32 s8, s8, s2
	s_lshl_b64 s[8:9], s[8:9], 1
	s_add_u32 s4, s4, s8
	s_addc_u32 s5, s5, s9
	v_cmp_gt_u32_e32 vcc, s13, v1
	v_mov_b32_e32 v10, 0
	v_lshlrev_b32_e32 v18, 4, v0
	v_mov_b32_e32 v2, 0
	v_mov_b32_e32 v3, 0
	;; [unrolled: 1-line block ×8, first 2 shown]
	s_and_saveexec_b64 s[8:9], vcc
	s_cbranch_execz .LBB19_2
; %bb.1:
	global_load_dwordx4 v[12:15], v18, s[4:5]
	s_waitcnt vmcnt(0)
	v_cvt_f32_f16_e32 v8, v12
	v_cvt_f32_f16_sdwa v9, v12 dst_sel:DWORD dst_unused:UNUSED_PAD src0_sel:WORD_1
	v_cvt_f32_f16_e32 v6, v13
	v_cvt_f32_f16_sdwa v7, v13 dst_sel:DWORD dst_unused:UNUSED_PAD src0_sel:WORD_1
	;; [unrolled: 2-line block ×4, first 2 shown]
.LBB19_2:
	s_or_b64 exec, exec, s[8:9]
	s_load_dword s12, s[0:1], 0x20
	s_waitcnt lgkmcnt(0)
	s_and_b32 s0, 0xffff, s14
	v_add_u32_e32 v1, s0, v0
	v_lshlrev_b32_e32 v11, 3, v1
	v_cmp_gt_u32_e64 s[0:1], s13, v11
	v_lshlrev_b32_e32 v19, 4, v1
	v_mov_b32_e32 v11, 0
	v_mov_b32_e32 v12, 0
	v_mov_b32_e32 v13, 0
	v_mov_b32_e32 v14, 0
	v_mov_b32_e32 v15, 0
	v_mov_b32_e32 v16, 0
	v_mov_b32_e32 v17, 0
	s_and_saveexec_b64 s[8:9], s[0:1]
	s_cbranch_execz .LBB19_4
; %bb.3:
	global_load_dwordx4 v[20:23], v19, s[4:5]
	s_waitcnt vmcnt(0)
	v_cvt_f32_f16_e32 v16, v20
	v_cvt_f32_f16_sdwa v17, v20 dst_sel:DWORD dst_unused:UNUSED_PAD src0_sel:WORD_1
	v_cvt_f32_f16_e32 v14, v21
	v_cvt_f32_f16_sdwa v15, v21 dst_sel:DWORD dst_unused:UNUSED_PAD src0_sel:WORD_1
	;; [unrolled: 2-line block ×4, first 2 shown]
.LBB19_4:
	s_or_b64 exec, exec, s[8:9]
	v_mbcnt_lo_u32_b32 v1, -1, 0
	v_pk_add_f32 v[22:23], v[2:3], v[2:3] op_sel:[0,1]
	v_pk_add_f32 v[2:3], v[2:3], v[2:3] op_sel_hi:[0,1] neg_lo:[0,1] neg_hi:[0,1]
	v_mbcnt_hi_u32_b32 v1, -1, v1
	v_and_b32_e32 v2, 64, v1
	v_add_u32_e32 v30, 64, v2
	v_xor_b32_e32 v2, 1, v1
	v_cmp_lt_i32_e64 s[4:5], v2, v30
	v_pk_add_f32 v[20:21], v[8:9], v[8:9] op_sel:[0,1]
	v_pk_add_f32 v[8:9], v[8:9], v[8:9] op_sel_hi:[0,1] neg_lo:[0,1] neg_hi:[0,1]
	v_cndmask_b32_e64 v2, v1, v2, s[4:5]
	v_mov_b32_e32 v21, v9
	v_pk_add_f32 v[8:9], v[6:7], v[6:7] op_sel:[0,1]
	v_pk_add_f32 v[6:7], v[6:7], v[6:7] op_sel_hi:[0,1] neg_lo:[0,1] neg_hi:[0,1]
	v_lshlrev_b32_e32 v32, 2, v2
	v_xor_b32_e32 v2, 2, v1
	v_mov_b32_e32 v9, v7
	v_pk_add_f32 v[6:7], v[4:5], v[4:5] op_sel:[0,1]
	v_pk_add_f32 v[4:5], v[4:5], v[4:5] op_sel_hi:[0,1] neg_lo:[0,1] neg_hi:[0,1]
	v_cmp_lt_i32_e64 s[4:5], v2, v30
	v_mov_b32_e32 v7, v5
	v_mov_b32_e32 v23, v3
	v_cndmask_b32_e64 v2, v1, v2, s[4:5]
	v_lshlrev_b32_e32 v33, 2, v2
	v_pk_add_f32 v[2:3], v[8:9], v[20:21]
	v_pk_add_f32 v[4:5], v[22:23], v[6:7]
	v_pk_add_f32 v[8:9], v[20:21], v[8:9] neg_lo:[0,1] neg_hi:[0,1]
	v_pk_add_f32 v[6:7], v[6:7], v[22:23] neg_lo:[0,1] neg_hi:[0,1]
	v_and_b32_e32 v26, 1, v0
	v_pk_add_f32 v[20:21], v[6:7], v[8:9]
	ds_bpermute_b32 v22, v32, v20
	v_cmp_eq_u32_e64 s[4:5], 0, v26
	v_pk_add_f32 v[24:25], v[4:5], v[2:3]
	v_pk_add_f32 v[6:7], v[8:9], v[6:7] neg_lo:[0,1] neg_hi:[0,1]
	v_cndmask_b32_e64 v8, -v20, v20, s[4:5]
	ds_bpermute_b32 v27, v32, v24
	s_waitcnt lgkmcnt(1)
	v_add_f32_e32 v36, v8, v22
	v_pk_add_f32 v[22:23], v[16:17], v[16:17] op_sel:[0,1]
	v_pk_add_f32 v[16:17], v[16:17], v[16:17] op_sel_hi:[0,1] neg_lo:[0,1] neg_hi:[0,1]
	v_mov_b32_e32 v23, v17
	v_pk_add_f32 v[16:17], v[14:15], v[14:15] op_sel:[0,1]
	v_pk_add_f32 v[14:15], v[14:15], v[14:15] op_sel_hi:[0,1] neg_lo:[0,1] neg_hi:[0,1]
	v_mov_b32_e32 v17, v15
	;; [unrolled: 3-line block ×3, first 2 shown]
	v_pk_add_f32 v[12:13], v[10:11], v[10:11] op_sel:[0,1]
	v_pk_add_f32 v[10:11], v[10:11], v[10:11] op_sel_hi:[0,1] neg_lo:[0,1] neg_hi:[0,1]
	v_pk_add_f32 v[2:3], v[2:3], v[4:5] neg_lo:[0,1] neg_hi:[0,1]
	v_cndmask_b32_e64 v4, -v24, v24, s[4:5]
	v_mov_b32_e32 v13, v11
	s_waitcnt lgkmcnt(0)
	v_add_f32_e32 v34, v4, v27
	v_pk_add_f32 v[10:11], v[16:17], v[22:23]
	v_pk_add_f32 v[26:27], v[12:13], v[14:15]
	v_pk_add_f32 v[16:17], v[22:23], v[16:17] neg_lo:[0,1] neg_hi:[0,1]
	v_pk_add_f32 v[28:29], v[26:27], v[10:11]
	v_pk_add_f32 v[12:13], v[14:15], v[12:13] neg_lo:[0,1] neg_hi:[0,1]
	ds_bpermute_b32 v38, v32, v28
	v_pk_add_f32 v[14:15], v[12:13], v[16:17]
	ds_bpermute_b32 v22, v32, v14
	ds_bpermute_b32 v23, v32, v15
	v_pk_add_f32 v[10:11], v[10:11], v[26:27] neg_lo:[0,1] neg_hi:[0,1]
	v_cndmask_b32_e64 v26, -v28, v28, s[4:5]
	v_pk_add_f32 v[12:13], v[16:17], v[12:13] neg_lo:[0,1] neg_hi:[0,1]
	ds_bpermute_b32 v24, v32, v25
	ds_bpermute_b32 v4, v32, v2
	;; [unrolled: 1-line block ×7, first 2 shown]
	s_waitcnt lgkmcnt(9)
	v_add_f32_e32 v38, v26, v38
	ds_bpermute_b32 v26, v32, v10
	ds_bpermute_b32 v27, v32, v11
	v_cndmask_b32_e64 v14, -v14, v14, s[4:5]
	ds_bpermute_b32 v16, v32, v12
	ds_bpermute_b32 v17, v32, v13
	s_waitcnt lgkmcnt(12)
	v_add_f32_e32 v40, v14, v22
	v_cndmask_b32_e64 v14, -v15, v15, s[4:5]
	s_waitcnt lgkmcnt(11)
	v_add_f32_e32 v32, v14, v23
	v_xor_b32_e32 v14, 4, v1
	v_cndmask_b32_e64 v25, -v25, v25, s[4:5]
	v_cndmask_b32_e64 v3, -v3, v3, s[4:5]
	;; [unrolled: 1-line block ×11, first 2 shown]
	v_cmp_lt_i32_e64 s[4:5], v14, v30
	s_waitcnt lgkmcnt(10)
	v_add_f32_e32 v35, v25, v24
	s_waitcnt lgkmcnt(8)
	v_pk_add_f32 v[4:5], v[2:3], v[4:5]
	v_cndmask_b32_e64 v14, v1, v14, s[4:5]
	s_waitcnt lgkmcnt(7)
	v_add_f32_e32 v37, v21, v20
	s_waitcnt lgkmcnt(5)
	v_pk_add_f32 v[8:9], v[6:7], v[8:9]
	s_waitcnt lgkmcnt(4)
	v_add_f32_e32 v39, v29, v28
	s_waitcnt lgkmcnt(2)
	v_pk_add_f32 v[26:27], v[10:11], v[26:27]
	s_waitcnt lgkmcnt(0)
	v_pk_add_f32 v[16:17], v[12:13], v[16:17]
	v_lshlrev_b32_e32 v41, 2, v14
	v_xor_b32_e32 v14, 8, v1
	v_and_b32_e32 v31, 2, v0
	ds_bpermute_b32 v24, v33, v34
	ds_bpermute_b32 v25, v33, v35
	;; [unrolled: 1-line block ×16, first 2 shown]
	v_and_b32_e32 v33, 4, v0
	v_and_b32_e32 v42, 8, v0
	v_cmp_lt_i32_e64 s[4:5], v14, v30
	v_and_b32_e32 v44, 16, v0
	v_xor_b32_e32 v0, 16, v1
	v_cndmask_b32_e64 v14, v1, v14, s[4:5]
	v_cmp_lt_i32_e64 s[4:5], v0, v30
	s_mul_i32 s3, s10, s3
	v_lshlrev_b32_e32 v43, 2, v14
	v_cndmask_b32_e64 v0, v1, v0, s[4:5]
	s_mul_hi_u32 s4, s10, s2
	s_add_i32 s3, s4, s3
	s_mul_i32 s4, s11, s2
	s_add_i32 s3, s3, s4
	s_mul_i32 s2, s10, s2
	s_lshl_b64 s[2:3], s[2:3], 1
	s_add_u32 s10, s6, s2
	s_addc_u32 s11, s7, s3
	v_cmp_eq_u32_e64 s[6:7], 0, v31
	v_lshlrev_b32_e32 v45, 2, v0
	v_cmp_eq_u32_e64 s[2:3], 0, v33
	v_cndmask_b32_e64 v1, -v35, v35, s[6:7]
	v_cndmask_b32_e64 v0, -v34, v34, s[6:7]
	;; [unrolled: 1-line block ×4, first 2 shown]
	s_waitcnt lgkmcnt(10)
	v_pk_add_f32 v[14:15], v[14:15], v[20:21]
	v_pk_add_f32 v[0:1], v[0:1], v[24:25]
	v_cndmask_b32_e64 v21, -v39, v39, s[6:7]
	v_cndmask_b32_e64 v20, -v38, v38, s[6:7]
	v_cndmask_b32_e64 v25, -v32, v32, s[6:7]
	v_cndmask_b32_e64 v24, -v40, v40, s[6:7]
	s_waitcnt lgkmcnt(6)
	v_pk_add_f32 v[10:11], v[20:21], v[10:11]
	ds_bpermute_b32 v20, v41, v0
	ds_bpermute_b32 v21, v41, v1
	s_waitcnt lgkmcnt(4)
	v_pk_add_f32 v[12:13], v[24:25], v[12:13]
	ds_bpermute_b32 v24, v41, v14
	ds_bpermute_b32 v25, v41, v15
	v_cndmask_b32_e64 v1, -v1, v1, s[2:3]
	v_cndmask_b32_e64 v0, -v0, v0, s[2:3]
	v_cndmask_b32_e64 v15, -v15, v15, s[2:3]
	v_cndmask_b32_e64 v14, -v14, v14, s[2:3]
	s_waitcnt lgkmcnt(2)
	v_pk_add_f32 v[0:1], v[0:1], v[20:21]
	ds_bpermute_b32 v20, v41, v10
	ds_bpermute_b32 v21, v41, v11
	s_waitcnt lgkmcnt(2)
	v_pk_add_f32 v[14:15], v[14:15], v[24:25]
	ds_bpermute_b32 v24, v41, v12
	ds_bpermute_b32 v25, v41, v13
	;; [unrolled: 12-line block ×3, first 2 shown]
	v_cmp_eq_u32_e64 s[8:9], 0, v42
	v_cmp_eq_u32_e64 s[4:5], 0, v44
	v_cndmask_b32_e64 v9, -v9, v9, s[6:7]
	v_cndmask_b32_e64 v1, -v1, v1, s[8:9]
	;; [unrolled: 1-line block ×5, first 2 shown]
	s_waitcnt lgkmcnt(2)
	v_pk_add_f32 v[0:1], v[0:1], v[20:21]
	ds_bpermute_b32 v20, v43, v10
	ds_bpermute_b32 v21, v43, v11
	s_waitcnt lgkmcnt(2)
	v_pk_add_f32 v[14:15], v[14:15], v[24:25]
	ds_bpermute_b32 v24, v43, v12
	ds_bpermute_b32 v25, v43, v13
	v_cndmask_b32_e64 v11, -v11, v11, s[8:9]
	v_cndmask_b32_e64 v10, -v10, v10, s[8:9]
	;; [unrolled: 1-line block ×4, first 2 shown]
	s_waitcnt lgkmcnt(2)
	v_pk_add_f32 v[20:21], v[10:11], v[20:21]
	s_waitcnt lgkmcnt(0)
	v_pk_add_f32 v[12:13], v[12:13], v[24:25]
	ds_bpermute_b32 v10, v45, v0
	ds_bpermute_b32 v11, v45, v1
	;; [unrolled: 1-line block ×4, first 2 shown]
	v_cndmask_b32_e64 v31, -v1, v1, s[4:5]
	v_cndmask_b32_e64 v30, -v0, v0, s[4:5]
	;; [unrolled: 1-line block ×4, first 2 shown]
	ds_bpermute_b32 v14, v45, v20
	ds_bpermute_b32 v15, v45, v21
	v_cndmask_b32_e64 v8, -v8, v8, s[6:7]
	v_cndmask_b32_e64 v21, -v21, v21, s[4:5]
	;; [unrolled: 1-line block ×3, first 2 shown]
	v_pk_add_f32 v[6:7], v[8:9], v[6:7]
	s_waitcnt lgkmcnt(0)
	v_pk_add_f32 v[14:15], v[20:21], v[14:15]
	ds_bpermute_b32 v20, v41, v6
	ds_bpermute_b32 v21, v41, v7
	v_cndmask_b32_e64 v5, -v5, v5, s[6:7]
	v_cndmask_b32_e64 v4, -v4, v4, s[6:7]
	v_pk_add_f32 v[2:3], v[4:5], v[2:3]
	v_cndmask_b32_e64 v9, -v17, v17, s[6:7]
	v_cndmask_b32_e64 v8, -v16, v16, s[6:7]
	v_pk_add_f32 v[8:9], v[8:9], v[22:23]
	ds_bpermute_b32 v16, v41, v2
	ds_bpermute_b32 v17, v41, v3
	v_cndmask_b32_e64 v7, -v7, v7, s[2:3]
	v_cndmask_b32_e64 v6, -v6, v6, s[2:3]
	s_waitcnt lgkmcnt(2)
	v_pk_add_f32 v[6:7], v[6:7], v[20:21]
	ds_bpermute_b32 v20, v41, v8
	ds_bpermute_b32 v21, v41, v9
	v_cndmask_b32_e64 v5, -v27, v27, s[6:7]
	v_cndmask_b32_e64 v4, -v26, v26, s[6:7]
	v_pk_add_f32 v[4:5], v[4:5], v[28:29]
	v_cndmask_b32_e64 v3, -v3, v3, s[2:3]
	v_cndmask_b32_e64 v2, -v2, v2, s[2:3]
	s_waitcnt lgkmcnt(2)
	v_pk_add_f32 v[2:3], v[2:3], v[16:17]
	ds_bpermute_b32 v16, v41, v4
	ds_bpermute_b32 v17, v41, v5
	v_cndmask_b32_e64 v9, -v9, v9, s[2:3]
	v_cndmask_b32_e64 v8, -v8, v8, s[2:3]
	s_waitcnt lgkmcnt(2)
	v_pk_add_f32 v[8:9], v[8:9], v[20:21]
	ds_bpermute_b32 v20, v43, v6
	ds_bpermute_b32 v21, v43, v7
	;; [unrolled: 6-line block ×7, first 2 shown]
	v_cndmask_b32_e64 v23, -v3, v3, s[4:5]
	v_cndmask_b32_e64 v22, -v2, v2, s[4:5]
	;; [unrolled: 1-line block ×4, first 2 shown]
	v_pk_add_f32 v[0:1], v[0:1], v[24:25]
	ds_bpermute_b32 v24, v45, v12
	ds_bpermute_b32 v25, v45, v13
	s_waitcnt lgkmcnt(4)
	v_pk_add_f32 v[2:3], v[2:3], v[20:21]
	ds_bpermute_b32 v20, v45, v16
	ds_bpermute_b32 v21, v45, v17
	;; [unrolled: 1-line block ×4, first 2 shown]
	v_cndmask_b32_e64 v13, -v13, v13, s[4:5]
	v_cndmask_b32_e64 v12, -v12, v12, s[4:5]
	;; [unrolled: 1-line block ×6, first 2 shown]
	v_pk_add_f32 v[10:11], v[30:31], v[10:11]
	s_waitcnt lgkmcnt(4)
	v_pk_add_f32 v[12:13], v[12:13], v[24:25]
	s_mov_b32 s13, s12
	v_pk_add_f32 v[4:5], v[22:23], v[4:5]
	s_waitcnt lgkmcnt(0)
	v_pk_add_f32 v[6:7], v[8:9], v[6:7]
	v_pk_add_f32 v[8:9], v[16:17], v[20:21]
	s_and_saveexec_b64 s[2:3], vcc
	s_cbranch_execnz .LBB19_7
; %bb.5:
	s_or_b64 exec, exec, s[2:3]
	s_and_saveexec_b64 s[2:3], s[0:1]
	s_cbranch_execnz .LBB19_8
.LBB19_6:
	s_endpgm
.LBB19_7:
	v_pk_add_f32 v[16:17], v[0:1], v[12:13]
	v_pk_add_f32 v[20:21], v[10:11], v[14:15]
	s_mov_b32 s4, s12
	s_mov_b32 s5, s12
	v_pk_mul_f32 v[16:17], s[4:5], v[16:17]
	v_pk_mul_f32 v[22:23], s[12:13], v[20:21]
	v_cvt_pk_f16_f32 v21, v16, v17
	v_cvt_pk_f16_f32 v20, v22, v23
	v_pk_add_f32 v[16:17], v[2:3], v[6:7]
	v_pk_add_f32 v[22:23], v[4:5], v[8:9]
	v_pk_mul_f32 v[16:17], s[4:5], v[16:17]
	v_pk_mul_f32 v[24:25], s[12:13], v[22:23]
	v_cvt_pk_f16_f32 v23, v16, v17
	v_cvt_pk_f16_f32 v22, v24, v25
	global_store_dwordx4 v18, v[20:23], s[10:11]
	s_or_b64 exec, exec, s[2:3]
	s_and_saveexec_b64 s[2:3], s[0:1]
	s_cbranch_execz .LBB19_6
.LBB19_8:
	v_sub_f32_e32 v1, v1, v13
	v_sub_f32_e32 v0, v0, v12
	;; [unrolled: 1-line block ×4, first 2 shown]
	s_mov_b32 s0, s12
	s_mov_b32 s1, s12
	v_sub_f32_e32 v3, v3, v7
	v_sub_f32_e32 v2, v2, v6
	;; [unrolled: 1-line block ×4, first 2 shown]
	v_pk_mul_f32 v[10:11], s[12:13], v[10:11]
	v_pk_mul_f32 v[0:1], s[0:1], v[0:1]
	;; [unrolled: 1-line block ×4, first 2 shown]
	v_cvt_pk_f16_f32 v1, v0, v1
	v_cvt_pk_f16_f32 v0, v10, v11
	;; [unrolled: 1-line block ×4, first 2 shown]
	global_store_dwordx4 v19, v[0:3], s[10:11]
	s_endpgm
	.section	.rodata,"a",@progbits
	.p2align	6, 0x0
	.amdhsa_kernel _Z30fast_hadamard_transform_kernelI37fast_hadamard_transform_kernel_traitsILi32ELi9E6__halfEEv18HadamardParamsBase
		.amdhsa_group_segment_fixed_size 0
		.amdhsa_private_segment_fixed_size 0
		.amdhsa_kernarg_size 312
		.amdhsa_user_sgpr_count 2
		.amdhsa_user_sgpr_dispatch_ptr 0
		.amdhsa_user_sgpr_queue_ptr 0
		.amdhsa_user_sgpr_kernarg_segment_ptr 1
		.amdhsa_user_sgpr_dispatch_id 0
		.amdhsa_user_sgpr_kernarg_preload_length 0
		.amdhsa_user_sgpr_kernarg_preload_offset 0
		.amdhsa_user_sgpr_private_segment_size 0
		.amdhsa_uses_dynamic_stack 0
		.amdhsa_enable_private_segment 0
		.amdhsa_system_sgpr_workgroup_id_x 1
		.amdhsa_system_sgpr_workgroup_id_y 0
		.amdhsa_system_sgpr_workgroup_id_z 0
		.amdhsa_system_sgpr_workgroup_info 0
		.amdhsa_system_vgpr_workitem_id 0
		.amdhsa_next_free_vgpr 46
		.amdhsa_next_free_sgpr 15
		.amdhsa_accum_offset 48
		.amdhsa_reserve_vcc 1
		.amdhsa_float_round_mode_32 0
		.amdhsa_float_round_mode_16_64 0
		.amdhsa_float_denorm_mode_32 3
		.amdhsa_float_denorm_mode_16_64 3
		.amdhsa_dx10_clamp 1
		.amdhsa_ieee_mode 1
		.amdhsa_fp16_overflow 0
		.amdhsa_tg_split 0
		.amdhsa_exception_fp_ieee_invalid_op 0
		.amdhsa_exception_fp_denorm_src 0
		.amdhsa_exception_fp_ieee_div_zero 0
		.amdhsa_exception_fp_ieee_overflow 0
		.amdhsa_exception_fp_ieee_underflow 0
		.amdhsa_exception_fp_ieee_inexact 0
		.amdhsa_exception_int_div_zero 0
	.end_amdhsa_kernel
	.section	.text._Z30fast_hadamard_transform_kernelI37fast_hadamard_transform_kernel_traitsILi32ELi9E6__halfEEv18HadamardParamsBase,"axG",@progbits,_Z30fast_hadamard_transform_kernelI37fast_hadamard_transform_kernel_traitsILi32ELi9E6__halfEEv18HadamardParamsBase,comdat
.Lfunc_end19:
	.size	_Z30fast_hadamard_transform_kernelI37fast_hadamard_transform_kernel_traitsILi32ELi9E6__halfEEv18HadamardParamsBase, .Lfunc_end19-_Z30fast_hadamard_transform_kernelI37fast_hadamard_transform_kernel_traitsILi32ELi9E6__halfEEv18HadamardParamsBase
                                        ; -- End function
	.set _Z30fast_hadamard_transform_kernelI37fast_hadamard_transform_kernel_traitsILi32ELi9E6__halfEEv18HadamardParamsBase.num_vgpr, 46
	.set _Z30fast_hadamard_transform_kernelI37fast_hadamard_transform_kernel_traitsILi32ELi9E6__halfEEv18HadamardParamsBase.num_agpr, 0
	.set _Z30fast_hadamard_transform_kernelI37fast_hadamard_transform_kernel_traitsILi32ELi9E6__halfEEv18HadamardParamsBase.numbered_sgpr, 15
	.set _Z30fast_hadamard_transform_kernelI37fast_hadamard_transform_kernel_traitsILi32ELi9E6__halfEEv18HadamardParamsBase.num_named_barrier, 0
	.set _Z30fast_hadamard_transform_kernelI37fast_hadamard_transform_kernel_traitsILi32ELi9E6__halfEEv18HadamardParamsBase.private_seg_size, 0
	.set _Z30fast_hadamard_transform_kernelI37fast_hadamard_transform_kernel_traitsILi32ELi9E6__halfEEv18HadamardParamsBase.uses_vcc, 1
	.set _Z30fast_hadamard_transform_kernelI37fast_hadamard_transform_kernel_traitsILi32ELi9E6__halfEEv18HadamardParamsBase.uses_flat_scratch, 0
	.set _Z30fast_hadamard_transform_kernelI37fast_hadamard_transform_kernel_traitsILi32ELi9E6__halfEEv18HadamardParamsBase.has_dyn_sized_stack, 0
	.set _Z30fast_hadamard_transform_kernelI37fast_hadamard_transform_kernel_traitsILi32ELi9E6__halfEEv18HadamardParamsBase.has_recursion, 0
	.set _Z30fast_hadamard_transform_kernelI37fast_hadamard_transform_kernel_traitsILi32ELi9E6__halfEEv18HadamardParamsBase.has_indirect_call, 0
	.section	.AMDGPU.csdata,"",@progbits
; Kernel info:
; codeLenInByte = 2872
; TotalNumSgprs: 21
; NumVgprs: 46
; NumAgprs: 0
; TotalNumVgprs: 46
; ScratchSize: 0
; MemoryBound: 0
; FloatMode: 240
; IeeeMode: 1
; LDSByteSize: 0 bytes/workgroup (compile time only)
; SGPRBlocks: 2
; VGPRBlocks: 5
; NumSGPRsForWavesPerEU: 21
; NumVGPRsForWavesPerEU: 46
; AccumOffset: 48
; Occupancy: 8
; WaveLimiterHint : 0
; COMPUTE_PGM_RSRC2:SCRATCH_EN: 0
; COMPUTE_PGM_RSRC2:USER_SGPR: 2
; COMPUTE_PGM_RSRC2:TRAP_HANDLER: 0
; COMPUTE_PGM_RSRC2:TGID_X_EN: 1
; COMPUTE_PGM_RSRC2:TGID_Y_EN: 0
; COMPUTE_PGM_RSRC2:TGID_Z_EN: 0
; COMPUTE_PGM_RSRC2:TIDIG_COMP_CNT: 0
; COMPUTE_PGM_RSRC3_GFX90A:ACCUM_OFFSET: 11
; COMPUTE_PGM_RSRC3_GFX90A:TG_SPLIT: 0
	.section	.text._Z30fast_hadamard_transform_kernelI37fast_hadamard_transform_kernel_traitsILi128ELi10E6__halfEEv18HadamardParamsBase,"axG",@progbits,_Z30fast_hadamard_transform_kernelI37fast_hadamard_transform_kernel_traitsILi128ELi10E6__halfEEv18HadamardParamsBase,comdat
	.protected	_Z30fast_hadamard_transform_kernelI37fast_hadamard_transform_kernel_traitsILi128ELi10E6__halfEEv18HadamardParamsBase ; -- Begin function _Z30fast_hadamard_transform_kernelI37fast_hadamard_transform_kernel_traitsILi128ELi10E6__halfEEv18HadamardParamsBase
	.globl	_Z30fast_hadamard_transform_kernelI37fast_hadamard_transform_kernel_traitsILi128ELi10E6__halfEEv18HadamardParamsBase
	.p2align	8
	.type	_Z30fast_hadamard_transform_kernelI37fast_hadamard_transform_kernel_traitsILi128ELi10E6__halfEEv18HadamardParamsBase,@function
_Z30fast_hadamard_transform_kernelI37fast_hadamard_transform_kernel_traitsILi128ELi10E6__halfEEv18HadamardParamsBase: ; @_Z30fast_hadamard_transform_kernelI37fast_hadamard_transform_kernel_traitsILi128ELi10E6__halfEEv18HadamardParamsBase
; %bb.0:
	s_load_dword s4, s[0:1], 0x4
	v_lshlrev_b32_e32 v1, 3, v0
	v_mov_b32_e32 v2, 0
	s_ashr_i32 s3, s2, 31
	v_mov_b32_e32 v6, 0
	s_waitcnt lgkmcnt(0)
	v_cmp_gt_u32_e32 vcc, s4, v1
	v_lshlrev_b32_e32 v1, 4, v0
	v_mov_b32_e32 v4, 0
	v_mov_b32_e32 v8, 0
	v_mov_b32_e32 v3, v2
	v_mov_b32_e32 v7, v2
	v_mov_b32_e32 v5, v2
	v_mov_b32_e32 v9, v2
	s_and_saveexec_b64 s[4:5], vcc
	s_cbranch_execz .LBB20_2
; %bb.1:
	s_load_dwordx2 s[6:7], s[0:1], 0x10
	s_load_dwordx2 s[8:9], s[0:1], 0x28
	s_waitcnt lgkmcnt(0)
	s_mul_i32 s10, s6, s3
	s_mul_hi_u32 s11, s6, s2
	s_mul_i32 s7, s7, s2
	s_add_i32 s10, s11, s10
	s_mul_i32 s6, s6, s2
	s_add_i32 s7, s10, s7
	s_lshl_b64 s[6:7], s[6:7], 1
	s_add_u32 s6, s8, s6
	s_addc_u32 s7, s9, s7
	global_load_dwordx4 v[10:13], v1, s[6:7]
	s_waitcnt vmcnt(0)
	v_cvt_f32_f16_e32 v5, v10
	v_cvt_f32_f16_sdwa v9, v10 dst_sel:DWORD dst_unused:UNUSED_PAD src0_sel:WORD_1
	v_cvt_f32_f16_e32 v3, v11
	v_cvt_f32_f16_sdwa v7, v11 dst_sel:DWORD dst_unused:UNUSED_PAD src0_sel:WORD_1
	;; [unrolled: 2-line block ×4, first 2 shown]
.LBB20_2:
	s_or_b64 exec, exec, s[4:5]
	v_pk_add_f32 v[10:11], v[8:9], v[4:5]
	v_pk_add_f32 v[12:13], v[6:7], v[2:3]
	v_pk_add_f32 v[4:5], v[4:5], v[8:9] neg_lo:[0,1] neg_hi:[0,1]
	v_pk_add_f32 v[2:3], v[2:3], v[6:7] neg_lo:[0,1] neg_hi:[0,1]
	v_pk_add_f32 v[14:15], v[12:13], v[10:11]
	v_pk_add_f32 v[6:7], v[2:3], v[4:5]
	v_pk_add_f32 v[2:3], v[4:5], v[2:3] neg_lo:[0,1] neg_hi:[0,1]
	v_pk_add_f32 v[10:11], v[10:11], v[12:13] neg_lo:[0,1] neg_hi:[0,1]
	v_add_f32_e32 v18, v2, v3
	v_sub_f32_e32 v19, v3, v2
	v_mbcnt_lo_u32_b32 v2, -1, 0
	v_mbcnt_hi_u32_b32 v20, -1, v2
	v_and_b32_e32 v2, 64, v20
	v_add_u32_e32 v21, 64, v2
	v_xor_b32_e32 v2, 1, v20
	v_cmp_lt_i32_e64 s[4:5], v2, v21
	v_add_f32_e32 v12, v14, v15
	v_add_f32_e32 v13, v6, v7
	v_cndmask_b32_e64 v2, v20, v2, s[4:5]
	v_add_f32_e32 v16, v10, v11
	v_lshlrev_b32_e32 v24, 2, v2
	v_and_b32_e32 v22, 1, v0
	ds_bpermute_b32 v2, v24, v12
	ds_bpermute_b32 v3, v24, v13
	;; [unrolled: 1-line block ×4, first 2 shown]
	v_cmp_eq_u32_e64 s[14:15], 0, v22
	v_sub_f32_e32 v17, v11, v10
	v_xor_b32_e32 v25, 4, v20
	v_cndmask_b32_e64 v11, -v13, v13, s[14:15]
	v_cndmask_b32_e64 v13, -v18, v18, s[14:15]
	v_xor_b32_e32 v18, 2, v20
	v_cmp_lt_i32_e64 s[4:5], v18, v21
	v_cndmask_b32_e64 v10, -v12, v12, s[14:15]
	v_cndmask_b32_e64 v12, -v16, v16, s[14:15]
	v_cndmask_b32_e64 v18, v20, v18, s[4:5]
	v_lshlrev_b32_e32 v18, 2, v18
	v_cmp_lt_i32_e64 s[4:5], v25, v21
	v_xor_b32_e32 v27, 8, v20
	s_waitcnt lgkmcnt(0)
	v_pk_add_f32 v[4:5], v[12:13], v[4:5]
	v_pk_add_f32 v[2:3], v[10:11], v[2:3]
	v_cndmask_b32_e64 v25, v20, v25, s[4:5]
	v_cmp_lt_i32_e64 s[4:5], v27, v21
	v_xor_b32_e32 v29, 16, v20
	ds_bpermute_b32 v10, v18, v2
	ds_bpermute_b32 v11, v18, v3
	;; [unrolled: 1-line block ×4, first 2 shown]
	v_cndmask_b32_e64 v27, v20, v27, s[4:5]
	v_cmp_lt_i32_e64 s[4:5], v29, v21
	v_xor_b32_e32 v31, 32, v20
	v_and_b32_e32 v23, 2, v0
	v_cndmask_b32_e64 v29, v20, v29, s[4:5]
	v_cmp_lt_i32_e64 s[4:5], v31, v21
	v_lshlrev_b32_e32 v25, 2, v25
	ds_bpermute_b32 v8, v24, v17
	v_cndmask_b32_e64 v20, v20, v31, s[4:5]
	v_cmp_eq_u32_e64 s[4:5], 0, v23
	ds_bpermute_b32 v9, v24, v19
	v_cndmask_b32_e64 v16, -v17, v17, s[14:15]
	v_cndmask_b32_e64 v3, -v3, v3, s[4:5]
	;; [unrolled: 1-line block ×5, first 2 shown]
	s_waitcnt lgkmcnt(2)
	v_pk_add_f32 v[4:5], v[4:5], v[12:13]
	v_pk_add_f32 v[2:3], v[2:3], v[10:11]
	ds_bpermute_b32 v10, v25, v2
	ds_bpermute_b32 v11, v25, v3
	;; [unrolled: 1-line block ×4, first 2 shown]
	v_cndmask_b32_e64 v17, -v19, v19, s[14:15]
	v_and_b32_e32 v19, 4, v0
	v_cmp_eq_u32_e64 s[6:7], 0, v19
	v_lshlrev_b32_e32 v27, 2, v27
	v_and_b32_e32 v26, 8, v0
	v_cndmask_b32_e64 v3, -v3, v3, s[6:7]
	v_cndmask_b32_e64 v2, -v2, v2, s[6:7]
	;; [unrolled: 1-line block ×4, first 2 shown]
	s_waitcnt lgkmcnt(0)
	v_pk_add_f32 v[4:5], v[4:5], v[12:13]
	v_pk_add_f32 v[2:3], v[2:3], v[10:11]
	ds_bpermute_b32 v10, v27, v2
	ds_bpermute_b32 v11, v27, v3
	ds_bpermute_b32 v12, v27, v4
	ds_bpermute_b32 v13, v27, v5
	v_cmp_eq_u32_e64 s[8:9], 0, v26
	v_lshlrev_b32_e32 v29, 2, v29
	v_and_b32_e32 v28, 16, v0
	v_cndmask_b32_e64 v3, -v3, v3, s[8:9]
	v_cndmask_b32_e64 v2, -v2, v2, s[8:9]
	;; [unrolled: 1-line block ×4, first 2 shown]
	s_waitcnt lgkmcnt(0)
	v_pk_add_f32 v[4:5], v[4:5], v[12:13]
	v_pk_add_f32 v[2:3], v[2:3], v[10:11]
	ds_bpermute_b32 v10, v29, v2
	ds_bpermute_b32 v11, v29, v3
	ds_bpermute_b32 v12, v29, v4
	ds_bpermute_b32 v13, v29, v5
	v_cmp_eq_u32_e64 s[10:11], 0, v28
	v_lshlrev_b32_e32 v20, 2, v20
	v_sub_f32_e32 v14, v15, v14
	v_cndmask_b32_e64 v3, -v3, v3, s[10:11]
	v_cndmask_b32_e64 v2, -v2, v2, s[10:11]
	;; [unrolled: 1-line block ×4, first 2 shown]
	s_waitcnt lgkmcnt(0)
	v_pk_add_f32 v[4:5], v[4:5], v[12:13]
	v_pk_add_f32 v[2:3], v[2:3], v[10:11]
	v_sub_f32_e32 v15, v7, v6
	ds_bpermute_b32 v10, v20, v2
	ds_bpermute_b32 v11, v20, v3
	;; [unrolled: 1-line block ×6, first 2 shown]
	v_and_b32_e32 v30, 32, v0
	v_lshrrev_b32_e32 v21, 6, v0
	v_cmp_eq_u32_e64 s[12:13], 0, v30
	v_lshrrev_b32_e32 v31, 1, v0
	v_xor_b32_e32 v0, v21, v0
	v_cndmask_b32_e64 v3, -v3, v3, s[12:13]
	v_cndmask_b32_e64 v2, -v2, v2, s[12:13]
	;; [unrolled: 1-line block ×6, first 2 shown]
	v_lshl_add_u32 v0, v0, 4, 0
	s_waitcnt lgkmcnt(2)
	v_pk_add_f32 v[4:5], v[4:5], v[12:13]
	v_pk_add_f32 v[2:3], v[2:3], v[10:11]
	s_waitcnt lgkmcnt(0)
	s_barrier
	ds_write_b128 v0, v[2:5]
	v_pk_add_f32 v[2:3], v[16:17], v[8:9]
	v_pk_add_f32 v[4:5], v[14:15], v[6:7]
	ds_bpermute_b32 v6, v18, v4
	ds_bpermute_b32 v7, v18, v5
	ds_bpermute_b32 v8, v18, v2
	ds_bpermute_b32 v9, v18, v3
	v_cndmask_b32_e64 v5, -v5, v5, s[4:5]
	v_cndmask_b32_e64 v4, -v4, v4, s[4:5]
	v_cndmask_b32_e64 v3, -v3, v3, s[4:5]
	v_cndmask_b32_e64 v2, -v2, v2, s[4:5]
	s_waitcnt lgkmcnt(0)
	v_pk_add_f32 v[2:3], v[2:3], v[8:9]
	v_pk_add_f32 v[4:5], v[4:5], v[6:7]
	ds_bpermute_b32 v6, v25, v4
	ds_bpermute_b32 v7, v25, v5
	ds_bpermute_b32 v8, v25, v2
	ds_bpermute_b32 v9, v25, v3
	v_cndmask_b32_e64 v5, -v5, v5, s[6:7]
	v_cndmask_b32_e64 v4, -v4, v4, s[6:7]
	v_cndmask_b32_e64 v3, -v3, v3, s[6:7]
	v_cndmask_b32_e64 v2, -v2, v2, s[6:7]
	s_waitcnt lgkmcnt(0)
	;; [unrolled: 11-line block ×4, first 2 shown]
	v_pk_add_f32 v[2:3], v[2:3], v[8:9]
	v_pk_add_f32 v[4:5], v[4:5], v[6:7]
	ds_bpermute_b32 v6, v20, v4
	ds_bpermute_b32 v7, v20, v5
	;; [unrolled: 1-line block ×4, first 2 shown]
	v_lshlrev_b32_e32 v21, 6, v22
	v_bitop3_b32 v21, v21, v22, v31 bitop3:0x36
	v_cndmask_b32_e64 v11, -v5, v5, s[12:13]
	v_cndmask_b32_e64 v10, -v4, v4, s[12:13]
	;; [unrolled: 1-line block ×4, first 2 shown]
	s_waitcnt lgkmcnt(0)
	v_pk_add_f32 v[4:5], v[2:3], v[8:9]
	v_pk_add_f32 v[2:3], v[10:11], v[6:7]
	v_lshl_add_u32 v14, v21, 4, 0
	ds_write_b128 v0, v[2:5] offset:2048
	s_waitcnt lgkmcnt(0)
	s_barrier
	ds_read_b128 v[2:5], v14
	ds_read_b128 v[6:9], v14 offset:2048
	s_waitcnt lgkmcnt(0)
	s_barrier
	ds_bpermute_b32 v10, v24, v2
	ds_bpermute_b32 v11, v24, v3
	;; [unrolled: 1-line block ×4, first 2 shown]
	v_cndmask_b32_e64 v3, -v3, v3, s[14:15]
	v_cndmask_b32_e64 v2, -v2, v2, s[14:15]
	;; [unrolled: 1-line block ×4, first 2 shown]
	s_waitcnt lgkmcnt(2)
	v_pk_add_f32 v[2:3], v[2:3], v[10:11]
	s_waitcnt lgkmcnt(0)
	v_pk_add_f32 v[4:5], v[4:5], v[12:13]
	ds_bpermute_b32 v10, v24, v6
	ds_bpermute_b32 v11, v24, v7
	;; [unrolled: 1-line block ×4, first 2 shown]
	v_cndmask_b32_e64 v7, -v7, v7, s[14:15]
	v_cndmask_b32_e64 v6, -v6, v6, s[14:15]
	;; [unrolled: 1-line block ×4, first 2 shown]
	s_waitcnt lgkmcnt(2)
	v_pk_add_f32 v[6:7], v[6:7], v[10:11]
	s_waitcnt lgkmcnt(0)
	v_pk_add_f32 v[8:9], v[8:9], v[12:13]
	ds_write_b128 v14, v[2:5]
	ds_write_b128 v14, v[6:9] offset:2048
	s_waitcnt lgkmcnt(0)
	s_barrier
	s_and_saveexec_b64 s[4:5], vcc
	s_cbranch_execz .LBB20_4
; %bb.3:
	s_load_dwordx2 s[4:5], s[0:1], 0x18
	s_load_dwordx2 s[6:7], s[0:1], 0x30
	s_load_dword s8, s[0:1], 0x20
	ds_read_b128 v[2:5], v0
	ds_read_b128 v[6:9], v0 offset:2048
	s_waitcnt lgkmcnt(0)
	s_mul_i32 s0, s4, s3
	s_mul_hi_u32 s1, s4, s2
	s_mul_i32 s3, s5, s2
	s_add_i32 s0, s1, s0
	s_add_i32 s1, s0, s3
	s_mul_i32 s0, s4, s2
	s_lshl_b64 s[0:1], s[0:1], 1
	v_pk_mul_f32 v[4:5], s[8:9], v[4:5] op_sel_hi:[0,1]
	s_add_u32 s0, s6, s0
	v_pk_mul_f32 v[10:11], s[8:9], v[2:3] op_sel_hi:[0,1]
	v_cvt_pk_f16_f32 v3, v4, v5
	v_pk_mul_f32 v[4:5], s[8:9], v[8:9] op_sel_hi:[0,1]
	v_pk_mul_f32 v[6:7], s[8:9], v[6:7] op_sel_hi:[0,1]
	s_addc_u32 s1, s7, s1
	v_cvt_pk_f16_f32 v2, v10, v11
	v_cvt_pk_f16_f32 v5, v4, v5
	;; [unrolled: 1-line block ×3, first 2 shown]
	global_store_dwordx4 v1, v[2:5], s[0:1]
.LBB20_4:
	s_endpgm
	.section	.rodata,"a",@progbits
	.p2align	6, 0x0
	.amdhsa_kernel _Z30fast_hadamard_transform_kernelI37fast_hadamard_transform_kernel_traitsILi128ELi10E6__halfEEv18HadamardParamsBase
		.amdhsa_group_segment_fixed_size 0
		.amdhsa_private_segment_fixed_size 0
		.amdhsa_kernarg_size 56
		.amdhsa_user_sgpr_count 2
		.amdhsa_user_sgpr_dispatch_ptr 0
		.amdhsa_user_sgpr_queue_ptr 0
		.amdhsa_user_sgpr_kernarg_segment_ptr 1
		.amdhsa_user_sgpr_dispatch_id 0
		.amdhsa_user_sgpr_kernarg_preload_length 0
		.amdhsa_user_sgpr_kernarg_preload_offset 0
		.amdhsa_user_sgpr_private_segment_size 0
		.amdhsa_uses_dynamic_stack 0
		.amdhsa_enable_private_segment 0
		.amdhsa_system_sgpr_workgroup_id_x 1
		.amdhsa_system_sgpr_workgroup_id_y 0
		.amdhsa_system_sgpr_workgroup_id_z 0
		.amdhsa_system_sgpr_workgroup_info 0
		.amdhsa_system_vgpr_workitem_id 0
		.amdhsa_next_free_vgpr 32
		.amdhsa_next_free_sgpr 16
		.amdhsa_accum_offset 32
		.amdhsa_reserve_vcc 1
		.amdhsa_float_round_mode_32 0
		.amdhsa_float_round_mode_16_64 0
		.amdhsa_float_denorm_mode_32 3
		.amdhsa_float_denorm_mode_16_64 3
		.amdhsa_dx10_clamp 1
		.amdhsa_ieee_mode 1
		.amdhsa_fp16_overflow 0
		.amdhsa_tg_split 0
		.amdhsa_exception_fp_ieee_invalid_op 0
		.amdhsa_exception_fp_denorm_src 0
		.amdhsa_exception_fp_ieee_div_zero 0
		.amdhsa_exception_fp_ieee_overflow 0
		.amdhsa_exception_fp_ieee_underflow 0
		.amdhsa_exception_fp_ieee_inexact 0
		.amdhsa_exception_int_div_zero 0
	.end_amdhsa_kernel
	.section	.text._Z30fast_hadamard_transform_kernelI37fast_hadamard_transform_kernel_traitsILi128ELi10E6__halfEEv18HadamardParamsBase,"axG",@progbits,_Z30fast_hadamard_transform_kernelI37fast_hadamard_transform_kernel_traitsILi128ELi10E6__halfEEv18HadamardParamsBase,comdat
.Lfunc_end20:
	.size	_Z30fast_hadamard_transform_kernelI37fast_hadamard_transform_kernel_traitsILi128ELi10E6__halfEEv18HadamardParamsBase, .Lfunc_end20-_Z30fast_hadamard_transform_kernelI37fast_hadamard_transform_kernel_traitsILi128ELi10E6__halfEEv18HadamardParamsBase
                                        ; -- End function
	.set _Z30fast_hadamard_transform_kernelI37fast_hadamard_transform_kernel_traitsILi128ELi10E6__halfEEv18HadamardParamsBase.num_vgpr, 32
	.set _Z30fast_hadamard_transform_kernelI37fast_hadamard_transform_kernel_traitsILi128ELi10E6__halfEEv18HadamardParamsBase.num_agpr, 0
	.set _Z30fast_hadamard_transform_kernelI37fast_hadamard_transform_kernel_traitsILi128ELi10E6__halfEEv18HadamardParamsBase.numbered_sgpr, 16
	.set _Z30fast_hadamard_transform_kernelI37fast_hadamard_transform_kernel_traitsILi128ELi10E6__halfEEv18HadamardParamsBase.num_named_barrier, 0
	.set _Z30fast_hadamard_transform_kernelI37fast_hadamard_transform_kernel_traitsILi128ELi10E6__halfEEv18HadamardParamsBase.private_seg_size, 0
	.set _Z30fast_hadamard_transform_kernelI37fast_hadamard_transform_kernel_traitsILi128ELi10E6__halfEEv18HadamardParamsBase.uses_vcc, 1
	.set _Z30fast_hadamard_transform_kernelI37fast_hadamard_transform_kernel_traitsILi128ELi10E6__halfEEv18HadamardParamsBase.uses_flat_scratch, 0
	.set _Z30fast_hadamard_transform_kernelI37fast_hadamard_transform_kernel_traitsILi128ELi10E6__halfEEv18HadamardParamsBase.has_dyn_sized_stack, 0
	.set _Z30fast_hadamard_transform_kernelI37fast_hadamard_transform_kernel_traitsILi128ELi10E6__halfEEv18HadamardParamsBase.has_recursion, 0
	.set _Z30fast_hadamard_transform_kernelI37fast_hadamard_transform_kernel_traitsILi128ELi10E6__halfEEv18HadamardParamsBase.has_indirect_call, 0
	.section	.AMDGPU.csdata,"",@progbits
; Kernel info:
; codeLenInByte = 1988
; TotalNumSgprs: 22
; NumVgprs: 32
; NumAgprs: 0
; TotalNumVgprs: 32
; ScratchSize: 0
; MemoryBound: 0
; FloatMode: 240
; IeeeMode: 1
; LDSByteSize: 0 bytes/workgroup (compile time only)
; SGPRBlocks: 2
; VGPRBlocks: 3
; NumSGPRsForWavesPerEU: 22
; NumVGPRsForWavesPerEU: 32
; AccumOffset: 32
; Occupancy: 8
; WaveLimiterHint : 0
; COMPUTE_PGM_RSRC2:SCRATCH_EN: 0
; COMPUTE_PGM_RSRC2:USER_SGPR: 2
; COMPUTE_PGM_RSRC2:TRAP_HANDLER: 0
; COMPUTE_PGM_RSRC2:TGID_X_EN: 1
; COMPUTE_PGM_RSRC2:TGID_Y_EN: 0
; COMPUTE_PGM_RSRC2:TGID_Z_EN: 0
; COMPUTE_PGM_RSRC2:TIDIG_COMP_CNT: 0
; COMPUTE_PGM_RSRC3_GFX90A:ACCUM_OFFSET: 7
; COMPUTE_PGM_RSRC3_GFX90A:TG_SPLIT: 0
	.section	.text._Z30fast_hadamard_transform_kernelI37fast_hadamard_transform_kernel_traitsILi256ELi11E6__halfEEv18HadamardParamsBase,"axG",@progbits,_Z30fast_hadamard_transform_kernelI37fast_hadamard_transform_kernel_traitsILi256ELi11E6__halfEEv18HadamardParamsBase,comdat
	.protected	_Z30fast_hadamard_transform_kernelI37fast_hadamard_transform_kernel_traitsILi256ELi11E6__halfEEv18HadamardParamsBase ; -- Begin function _Z30fast_hadamard_transform_kernelI37fast_hadamard_transform_kernel_traitsILi256ELi11E6__halfEEv18HadamardParamsBase
	.globl	_Z30fast_hadamard_transform_kernelI37fast_hadamard_transform_kernel_traitsILi256ELi11E6__halfEEv18HadamardParamsBase
	.p2align	8
	.type	_Z30fast_hadamard_transform_kernelI37fast_hadamard_transform_kernel_traitsILi256ELi11E6__halfEEv18HadamardParamsBase,@function
_Z30fast_hadamard_transform_kernelI37fast_hadamard_transform_kernel_traitsILi256ELi11E6__halfEEv18HadamardParamsBase: ; @_Z30fast_hadamard_transform_kernelI37fast_hadamard_transform_kernel_traitsILi256ELi11E6__halfEEv18HadamardParamsBase
; %bb.0:
	s_load_dword s4, s[0:1], 0x4
	v_lshlrev_b32_e32 v1, 3, v0
	v_mov_b32_e32 v2, 0
	s_ashr_i32 s3, s2, 31
	v_mov_b32_e32 v6, 0
	s_waitcnt lgkmcnt(0)
	v_cmp_gt_u32_e32 vcc, s4, v1
	v_lshlrev_b32_e32 v1, 4, v0
	v_mov_b32_e32 v4, 0
	v_mov_b32_e32 v8, 0
	;; [unrolled: 1-line block ×6, first 2 shown]
	s_and_saveexec_b64 s[4:5], vcc
	s_cbranch_execz .LBB21_2
; %bb.1:
	s_load_dwordx2 s[6:7], s[0:1], 0x10
	s_load_dwordx2 s[8:9], s[0:1], 0x28
	s_waitcnt lgkmcnt(0)
	s_mul_i32 s10, s6, s3
	s_mul_hi_u32 s11, s6, s2
	s_mul_i32 s7, s7, s2
	s_add_i32 s10, s11, s10
	s_mul_i32 s6, s6, s2
	s_add_i32 s7, s10, s7
	s_lshl_b64 s[6:7], s[6:7], 1
	s_add_u32 s6, s8, s6
	s_addc_u32 s7, s9, s7
	global_load_dwordx4 v[10:13], v1, s[6:7]
	s_waitcnt vmcnt(0)
	v_cvt_f32_f16_e32 v5, v10
	v_cvt_f32_f16_sdwa v9, v10 dst_sel:DWORD dst_unused:UNUSED_PAD src0_sel:WORD_1
	v_cvt_f32_f16_e32 v3, v11
	v_cvt_f32_f16_sdwa v7, v11 dst_sel:DWORD dst_unused:UNUSED_PAD src0_sel:WORD_1
	;; [unrolled: 2-line block ×4, first 2 shown]
.LBB21_2:
	s_or_b64 exec, exec, s[4:5]
	v_pk_add_f32 v[10:11], v[8:9], v[4:5]
	v_pk_add_f32 v[12:13], v[6:7], v[2:3]
	v_pk_add_f32 v[4:5], v[4:5], v[8:9] neg_lo:[0,1] neg_hi:[0,1]
	v_pk_add_f32 v[2:3], v[2:3], v[6:7] neg_lo:[0,1] neg_hi:[0,1]
	v_pk_add_f32 v[14:15], v[12:13], v[10:11]
	v_pk_add_f32 v[6:7], v[2:3], v[4:5]
	v_pk_add_f32 v[2:3], v[4:5], v[2:3] neg_lo:[0,1] neg_hi:[0,1]
	v_pk_add_f32 v[10:11], v[10:11], v[12:13] neg_lo:[0,1] neg_hi:[0,1]
	v_add_f32_e32 v18, v2, v3
	v_sub_f32_e32 v19, v3, v2
	v_mbcnt_lo_u32_b32 v2, -1, 0
	v_mbcnt_hi_u32_b32 v20, -1, v2
	v_and_b32_e32 v2, 64, v20
	v_add_u32_e32 v21, 64, v2
	v_xor_b32_e32 v2, 1, v20
	v_cmp_lt_i32_e64 s[4:5], v2, v21
	v_add_f32_e32 v12, v14, v15
	v_add_f32_e32 v13, v6, v7
	v_cndmask_b32_e64 v2, v20, v2, s[4:5]
	v_add_f32_e32 v16, v10, v11
	v_lshlrev_b32_e32 v23, 2, v2
	v_sub_f32_e32 v17, v11, v10
	v_and_b32_e32 v10, 1, v0
	ds_bpermute_b32 v2, v23, v12
	ds_bpermute_b32 v3, v23, v13
	;; [unrolled: 1-line block ×4, first 2 shown]
	v_cmp_eq_u32_e64 s[14:15], 0, v10
	v_xor_b32_e32 v24, 4, v20
	v_xor_b32_e32 v26, 8, v20
	v_cndmask_b32_e64 v11, -v13, v13, s[14:15]
	v_cndmask_b32_e64 v13, -v18, v18, s[14:15]
	v_xor_b32_e32 v18, 2, v20
	v_cmp_lt_i32_e64 s[4:5], v18, v21
	v_cndmask_b32_e64 v10, -v12, v12, s[14:15]
	v_cndmask_b32_e64 v12, -v16, v16, s[14:15]
	v_cndmask_b32_e64 v18, v20, v18, s[4:5]
	v_lshlrev_b32_e32 v18, 2, v18
	v_cmp_lt_i32_e64 s[4:5], v24, v21
	s_waitcnt lgkmcnt(0)
	v_pk_add_f32 v[4:5], v[12:13], v[4:5]
	v_pk_add_f32 v[2:3], v[10:11], v[2:3]
	v_cndmask_b32_e64 v24, v20, v24, s[4:5]
	v_cmp_lt_i32_e64 s[4:5], v26, v21
	v_xor_b32_e32 v28, 16, v20
	ds_bpermute_b32 v10, v18, v2
	ds_bpermute_b32 v11, v18, v3
	ds_bpermute_b32 v12, v18, v4
	ds_bpermute_b32 v13, v18, v5
	v_cndmask_b32_e64 v26, v20, v26, s[4:5]
	v_cmp_lt_i32_e64 s[4:5], v28, v21
	v_xor_b32_e32 v30, 32, v20
	v_and_b32_e32 v22, 2, v0
	v_cndmask_b32_e64 v28, v20, v28, s[4:5]
	v_cmp_lt_i32_e64 s[4:5], v30, v21
	v_lshlrev_b32_e32 v24, 2, v24
	ds_bpermute_b32 v8, v23, v17
	v_cndmask_b32_e64 v20, v20, v30, s[4:5]
	v_cmp_eq_u32_e64 s[4:5], 0, v22
	ds_bpermute_b32 v9, v23, v19
	v_cndmask_b32_e64 v16, -v17, v17, s[14:15]
	v_cndmask_b32_e64 v3, -v3, v3, s[4:5]
	;; [unrolled: 1-line block ×5, first 2 shown]
	s_waitcnt lgkmcnt(2)
	v_pk_add_f32 v[4:5], v[4:5], v[12:13]
	v_pk_add_f32 v[2:3], v[2:3], v[10:11]
	ds_bpermute_b32 v10, v24, v2
	ds_bpermute_b32 v11, v24, v3
	;; [unrolled: 1-line block ×4, first 2 shown]
	v_cndmask_b32_e64 v17, -v19, v19, s[14:15]
	v_and_b32_e32 v19, 4, v0
	v_cmp_eq_u32_e64 s[6:7], 0, v19
	v_lshlrev_b32_e32 v26, 2, v26
	v_and_b32_e32 v25, 8, v0
	v_cndmask_b32_e64 v3, -v3, v3, s[6:7]
	v_cndmask_b32_e64 v2, -v2, v2, s[6:7]
	v_cndmask_b32_e64 v5, -v5, v5, s[6:7]
	v_cndmask_b32_e64 v4, -v4, v4, s[6:7]
	s_waitcnt lgkmcnt(0)
	v_pk_add_f32 v[4:5], v[4:5], v[12:13]
	v_pk_add_f32 v[2:3], v[2:3], v[10:11]
	ds_bpermute_b32 v10, v26, v2
	ds_bpermute_b32 v11, v26, v3
	;; [unrolled: 1-line block ×4, first 2 shown]
	v_cmp_eq_u32_e64 s[8:9], 0, v25
	v_lshlrev_b32_e32 v28, 2, v28
	v_and_b32_e32 v27, 16, v0
	v_cndmask_b32_e64 v3, -v3, v3, s[8:9]
	v_cndmask_b32_e64 v2, -v2, v2, s[8:9]
	v_cndmask_b32_e64 v5, -v5, v5, s[8:9]
	v_cndmask_b32_e64 v4, -v4, v4, s[8:9]
	s_waitcnt lgkmcnt(0)
	v_pk_add_f32 v[4:5], v[4:5], v[12:13]
	v_pk_add_f32 v[2:3], v[2:3], v[10:11]
	ds_bpermute_b32 v10, v28, v2
	ds_bpermute_b32 v11, v28, v3
	;; [unrolled: 1-line block ×4, first 2 shown]
	v_cmp_eq_u32_e64 s[10:11], 0, v27
	v_lshlrev_b32_e32 v20, 2, v20
	v_sub_f32_e32 v14, v15, v14
	v_cndmask_b32_e64 v3, -v3, v3, s[10:11]
	v_cndmask_b32_e64 v2, -v2, v2, s[10:11]
	;; [unrolled: 1-line block ×4, first 2 shown]
	s_waitcnt lgkmcnt(0)
	v_pk_add_f32 v[4:5], v[4:5], v[12:13]
	v_pk_add_f32 v[2:3], v[2:3], v[10:11]
	v_sub_f32_e32 v15, v7, v6
	ds_bpermute_b32 v10, v20, v2
	ds_bpermute_b32 v11, v20, v3
	;; [unrolled: 1-line block ×6, first 2 shown]
	v_and_b32_e32 v29, 32, v0
	v_lshrrev_b32_e32 v21, 6, v0
	v_cmp_eq_u32_e64 s[12:13], 0, v29
	v_and_b32_e32 v30, 3, v0
	v_lshrrev_b32_e32 v31, 2, v0
	v_xor_b32_e32 v0, v21, v0
	v_cndmask_b32_e64 v3, -v3, v3, s[12:13]
	v_cndmask_b32_e64 v2, -v2, v2, s[12:13]
	;; [unrolled: 1-line block ×6, first 2 shown]
	v_lshl_add_u32 v0, v0, 4, 0
	s_waitcnt lgkmcnt(2)
	v_pk_add_f32 v[4:5], v[4:5], v[12:13]
	v_pk_add_f32 v[2:3], v[2:3], v[10:11]
	s_waitcnt lgkmcnt(0)
	s_barrier
	ds_write_b128 v0, v[2:5]
	v_pk_add_f32 v[2:3], v[16:17], v[8:9]
	v_pk_add_f32 v[4:5], v[14:15], v[6:7]
	ds_bpermute_b32 v6, v18, v4
	ds_bpermute_b32 v7, v18, v5
	ds_bpermute_b32 v8, v18, v2
	ds_bpermute_b32 v9, v18, v3
	v_cndmask_b32_e64 v5, -v5, v5, s[4:5]
	v_cndmask_b32_e64 v4, -v4, v4, s[4:5]
	v_cndmask_b32_e64 v3, -v3, v3, s[4:5]
	v_cndmask_b32_e64 v2, -v2, v2, s[4:5]
	s_waitcnt lgkmcnt(0)
	v_pk_add_f32 v[2:3], v[2:3], v[8:9]
	v_pk_add_f32 v[4:5], v[4:5], v[6:7]
	ds_bpermute_b32 v6, v24, v4
	ds_bpermute_b32 v7, v24, v5
	ds_bpermute_b32 v8, v24, v2
	ds_bpermute_b32 v9, v24, v3
	v_cndmask_b32_e64 v5, -v5, v5, s[6:7]
	v_cndmask_b32_e64 v4, -v4, v4, s[6:7]
	v_cndmask_b32_e64 v3, -v3, v3, s[6:7]
	v_cndmask_b32_e64 v2, -v2, v2, s[6:7]
	s_waitcnt lgkmcnt(0)
	;; [unrolled: 11-line block ×4, first 2 shown]
	v_pk_add_f32 v[2:3], v[2:3], v[8:9]
	v_pk_add_f32 v[4:5], v[4:5], v[6:7]
	ds_bpermute_b32 v6, v20, v4
	ds_bpermute_b32 v7, v20, v5
	;; [unrolled: 1-line block ×4, first 2 shown]
	v_lshlrev_b32_e32 v21, 6, v30
	v_bitop3_b32 v21, v21, v30, v31 bitop3:0x36
	v_cndmask_b32_e64 v11, -v5, v5, s[12:13]
	v_cndmask_b32_e64 v10, -v4, v4, s[12:13]
	;; [unrolled: 1-line block ×4, first 2 shown]
	s_waitcnt lgkmcnt(0)
	v_pk_add_f32 v[4:5], v[2:3], v[8:9]
	v_pk_add_f32 v[2:3], v[10:11], v[6:7]
	v_lshl_add_u32 v14, v21, 4, 0
	ds_write_b128 v0, v[2:5] offset:4096
	s_waitcnt lgkmcnt(0)
	s_barrier
	ds_read_b128 v[2:5], v14
	ds_read_b128 v[6:9], v14 offset:4096
	s_waitcnt lgkmcnt(0)
	s_barrier
	ds_bpermute_b32 v10, v23, v2
	ds_bpermute_b32 v11, v23, v3
	ds_bpermute_b32 v12, v23, v4
	ds_bpermute_b32 v13, v23, v5
	v_cndmask_b32_e64 v3, -v3, v3, s[14:15]
	v_cndmask_b32_e64 v2, -v2, v2, s[14:15]
	v_cndmask_b32_e64 v5, -v5, v5, s[14:15]
	v_cndmask_b32_e64 v4, -v4, v4, s[14:15]
	s_waitcnt lgkmcnt(0)
	v_pk_add_f32 v[4:5], v[4:5], v[12:13]
	v_pk_add_f32 v[2:3], v[2:3], v[10:11]
	ds_bpermute_b32 v10, v18, v2
	ds_bpermute_b32 v11, v18, v3
	ds_bpermute_b32 v12, v18, v4
	ds_bpermute_b32 v13, v18, v5
	v_cndmask_b32_e64 v3, -v3, v3, s[4:5]
	v_cndmask_b32_e64 v2, -v2, v2, s[4:5]
	v_cndmask_b32_e64 v5, -v5, v5, s[4:5]
	v_cndmask_b32_e64 v4, -v4, v4, s[4:5]
	s_waitcnt lgkmcnt(0)
	v_pk_add_f32 v[4:5], v[4:5], v[12:13]
	v_pk_add_f32 v[2:3], v[2:3], v[10:11]
	ds_bpermute_b32 v10, v23, v6
	ds_bpermute_b32 v11, v23, v7
	ds_bpermute_b32 v12, v23, v8
	ds_bpermute_b32 v13, v23, v9
	v_cndmask_b32_e64 v7, -v7, v7, s[14:15]
	v_cndmask_b32_e64 v6, -v6, v6, s[14:15]
	v_cndmask_b32_e64 v9, -v9, v9, s[14:15]
	v_cndmask_b32_e64 v8, -v8, v8, s[14:15]
	s_waitcnt lgkmcnt(0)
	v_pk_add_f32 v[8:9], v[8:9], v[12:13]
	v_pk_add_f32 v[6:7], v[6:7], v[10:11]
	ds_bpermute_b32 v10, v18, v6
	ds_bpermute_b32 v11, v18, v7
	ds_bpermute_b32 v12, v18, v8
	ds_bpermute_b32 v13, v18, v9
	v_cndmask_b32_e64 v7, -v7, v7, s[4:5]
	v_cndmask_b32_e64 v6, -v6, v6, s[4:5]
	v_cndmask_b32_e64 v9, -v9, v9, s[4:5]
	v_cndmask_b32_e64 v8, -v8, v8, s[4:5]
	s_waitcnt lgkmcnt(0)
	v_pk_add_f32 v[8:9], v[8:9], v[12:13]
	v_pk_add_f32 v[6:7], v[6:7], v[10:11]
	ds_write_b128 v14, v[2:5]
	ds_write_b128 v14, v[6:9] offset:4096
	s_waitcnt lgkmcnt(0)
	s_barrier
	s_and_saveexec_b64 s[4:5], vcc
	s_cbranch_execz .LBB21_4
; %bb.3:
	s_load_dwordx2 s[4:5], s[0:1], 0x18
	s_load_dwordx2 s[6:7], s[0:1], 0x30
	s_load_dword s8, s[0:1], 0x20
	ds_read_b128 v[2:5], v0
	ds_read_b128 v[6:9], v0 offset:4096
	s_waitcnt lgkmcnt(0)
	s_mul_i32 s0, s4, s3
	s_mul_hi_u32 s1, s4, s2
	s_mul_i32 s3, s5, s2
	s_add_i32 s0, s1, s0
	s_add_i32 s1, s0, s3
	s_mul_i32 s0, s4, s2
	s_lshl_b64 s[0:1], s[0:1], 1
	v_pk_mul_f32 v[4:5], s[8:9], v[4:5] op_sel_hi:[0,1]
	s_add_u32 s0, s6, s0
	v_pk_mul_f32 v[10:11], s[8:9], v[2:3] op_sel_hi:[0,1]
	v_cvt_pk_f16_f32 v3, v4, v5
	v_pk_mul_f32 v[4:5], s[8:9], v[8:9] op_sel_hi:[0,1]
	v_pk_mul_f32 v[6:7], s[8:9], v[6:7] op_sel_hi:[0,1]
	s_addc_u32 s1, s7, s1
	v_cvt_pk_f16_f32 v2, v10, v11
	v_cvt_pk_f16_f32 v5, v4, v5
	;; [unrolled: 1-line block ×3, first 2 shown]
	global_store_dwordx4 v1, v[2:5], s[0:1]
.LBB21_4:
	s_endpgm
	.section	.rodata,"a",@progbits
	.p2align	6, 0x0
	.amdhsa_kernel _Z30fast_hadamard_transform_kernelI37fast_hadamard_transform_kernel_traitsILi256ELi11E6__halfEEv18HadamardParamsBase
		.amdhsa_group_segment_fixed_size 0
		.amdhsa_private_segment_fixed_size 0
		.amdhsa_kernarg_size 56
		.amdhsa_user_sgpr_count 2
		.amdhsa_user_sgpr_dispatch_ptr 0
		.amdhsa_user_sgpr_queue_ptr 0
		.amdhsa_user_sgpr_kernarg_segment_ptr 1
		.amdhsa_user_sgpr_dispatch_id 0
		.amdhsa_user_sgpr_kernarg_preload_length 0
		.amdhsa_user_sgpr_kernarg_preload_offset 0
		.amdhsa_user_sgpr_private_segment_size 0
		.amdhsa_uses_dynamic_stack 0
		.amdhsa_enable_private_segment 0
		.amdhsa_system_sgpr_workgroup_id_x 1
		.amdhsa_system_sgpr_workgroup_id_y 0
		.amdhsa_system_sgpr_workgroup_id_z 0
		.amdhsa_system_sgpr_workgroup_info 0
		.amdhsa_system_vgpr_workitem_id 0
		.amdhsa_next_free_vgpr 32
		.amdhsa_next_free_sgpr 16
		.amdhsa_accum_offset 32
		.amdhsa_reserve_vcc 1
		.amdhsa_float_round_mode_32 0
		.amdhsa_float_round_mode_16_64 0
		.amdhsa_float_denorm_mode_32 3
		.amdhsa_float_denorm_mode_16_64 3
		.amdhsa_dx10_clamp 1
		.amdhsa_ieee_mode 1
		.amdhsa_fp16_overflow 0
		.amdhsa_tg_split 0
		.amdhsa_exception_fp_ieee_invalid_op 0
		.amdhsa_exception_fp_denorm_src 0
		.amdhsa_exception_fp_ieee_div_zero 0
		.amdhsa_exception_fp_ieee_overflow 0
		.amdhsa_exception_fp_ieee_underflow 0
		.amdhsa_exception_fp_ieee_inexact 0
		.amdhsa_exception_int_div_zero 0
	.end_amdhsa_kernel
	.section	.text._Z30fast_hadamard_transform_kernelI37fast_hadamard_transform_kernel_traitsILi256ELi11E6__halfEEv18HadamardParamsBase,"axG",@progbits,_Z30fast_hadamard_transform_kernelI37fast_hadamard_transform_kernel_traitsILi256ELi11E6__halfEEv18HadamardParamsBase,comdat
.Lfunc_end21:
	.size	_Z30fast_hadamard_transform_kernelI37fast_hadamard_transform_kernel_traitsILi256ELi11E6__halfEEv18HadamardParamsBase, .Lfunc_end21-_Z30fast_hadamard_transform_kernelI37fast_hadamard_transform_kernel_traitsILi256ELi11E6__halfEEv18HadamardParamsBase
                                        ; -- End function
	.set _Z30fast_hadamard_transform_kernelI37fast_hadamard_transform_kernel_traitsILi256ELi11E6__halfEEv18HadamardParamsBase.num_vgpr, 32
	.set _Z30fast_hadamard_transform_kernelI37fast_hadamard_transform_kernel_traitsILi256ELi11E6__halfEEv18HadamardParamsBase.num_agpr, 0
	.set _Z30fast_hadamard_transform_kernelI37fast_hadamard_transform_kernel_traitsILi256ELi11E6__halfEEv18HadamardParamsBase.numbered_sgpr, 16
	.set _Z30fast_hadamard_transform_kernelI37fast_hadamard_transform_kernel_traitsILi256ELi11E6__halfEEv18HadamardParamsBase.num_named_barrier, 0
	.set _Z30fast_hadamard_transform_kernelI37fast_hadamard_transform_kernel_traitsILi256ELi11E6__halfEEv18HadamardParamsBase.private_seg_size, 0
	.set _Z30fast_hadamard_transform_kernelI37fast_hadamard_transform_kernel_traitsILi256ELi11E6__halfEEv18HadamardParamsBase.uses_vcc, 1
	.set _Z30fast_hadamard_transform_kernelI37fast_hadamard_transform_kernel_traitsILi256ELi11E6__halfEEv18HadamardParamsBase.uses_flat_scratch, 0
	.set _Z30fast_hadamard_transform_kernelI37fast_hadamard_transform_kernel_traitsILi256ELi11E6__halfEEv18HadamardParamsBase.has_dyn_sized_stack, 0
	.set _Z30fast_hadamard_transform_kernelI37fast_hadamard_transform_kernel_traitsILi256ELi11E6__halfEEv18HadamardParamsBase.has_recursion, 0
	.set _Z30fast_hadamard_transform_kernelI37fast_hadamard_transform_kernel_traitsILi256ELi11E6__halfEEv18HadamardParamsBase.has_indirect_call, 0
	.section	.AMDGPU.csdata,"",@progbits
; Kernel info:
; codeLenInByte = 2152
; TotalNumSgprs: 22
; NumVgprs: 32
; NumAgprs: 0
; TotalNumVgprs: 32
; ScratchSize: 0
; MemoryBound: 0
; FloatMode: 240
; IeeeMode: 1
; LDSByteSize: 0 bytes/workgroup (compile time only)
; SGPRBlocks: 2
; VGPRBlocks: 3
; NumSGPRsForWavesPerEU: 22
; NumVGPRsForWavesPerEU: 32
; AccumOffset: 32
; Occupancy: 8
; WaveLimiterHint : 0
; COMPUTE_PGM_RSRC2:SCRATCH_EN: 0
; COMPUTE_PGM_RSRC2:USER_SGPR: 2
; COMPUTE_PGM_RSRC2:TRAP_HANDLER: 0
; COMPUTE_PGM_RSRC2:TGID_X_EN: 1
; COMPUTE_PGM_RSRC2:TGID_Y_EN: 0
; COMPUTE_PGM_RSRC2:TGID_Z_EN: 0
; COMPUTE_PGM_RSRC2:TIDIG_COMP_CNT: 0
; COMPUTE_PGM_RSRC3_GFX90A:ACCUM_OFFSET: 7
; COMPUTE_PGM_RSRC3_GFX90A:TG_SPLIT: 0
	.section	.text._Z30fast_hadamard_transform_kernelI37fast_hadamard_transform_kernel_traitsILi256ELi12E6__halfEEv18HadamardParamsBase,"axG",@progbits,_Z30fast_hadamard_transform_kernelI37fast_hadamard_transform_kernel_traitsILi256ELi12E6__halfEEv18HadamardParamsBase,comdat
	.protected	_Z30fast_hadamard_transform_kernelI37fast_hadamard_transform_kernel_traitsILi256ELi12E6__halfEEv18HadamardParamsBase ; -- Begin function _Z30fast_hadamard_transform_kernelI37fast_hadamard_transform_kernel_traitsILi256ELi12E6__halfEEv18HadamardParamsBase
	.globl	_Z30fast_hadamard_transform_kernelI37fast_hadamard_transform_kernel_traitsILi256ELi12E6__halfEEv18HadamardParamsBase
	.p2align	8
	.type	_Z30fast_hadamard_transform_kernelI37fast_hadamard_transform_kernel_traitsILi256ELi12E6__halfEEv18HadamardParamsBase,@function
_Z30fast_hadamard_transform_kernelI37fast_hadamard_transform_kernel_traitsILi256ELi12E6__halfEEv18HadamardParamsBase: ; @_Z30fast_hadamard_transform_kernelI37fast_hadamard_transform_kernel_traitsILi256ELi12E6__halfEEv18HadamardParamsBase
; %bb.0:
	s_load_dwordx4 s[20:23], s[0:1], 0x10
	s_load_dword s8, s[0:1], 0x4
	s_load_dwordx4 s[16:19], s[0:1], 0x28
	s_ashr_i32 s3, s2, 31
	s_load_dword s9, s[0:1], 0x44
	s_waitcnt lgkmcnt(0)
	s_mul_hi_u32 s4, s20, s2
	s_mul_i32 s5, s20, s3
	s_add_i32 s4, s4, s5
	s_mul_i32 s5, s21, s2
	s_add_i32 s5, s4, s5
	s_mul_i32 s4, s20, s2
	s_lshl_b64 s[4:5], s[4:5], 1
	s_add_u32 s4, s16, s4
	v_lshlrev_b32_e32 v1, 3, v0
	s_addc_u32 s5, s17, s5
	v_cmp_gt_u32_e32 vcc, s8, v1
	v_mov_b32_e32 v2, 0
	v_lshlrev_b32_e32 v18, 4, v0
	v_mov_b32_e32 v4, 0
	v_mov_b32_e32 v5, 0
	;; [unrolled: 1-line block ×8, first 2 shown]
	s_and_saveexec_b64 s[6:7], vcc
	s_cbranch_execz .LBB22_2
; %bb.1:
	global_load_dwordx4 v[12:15], v18, s[4:5]
	s_waitcnt vmcnt(0)
	v_cvt_f32_f16_e32 v8, v13
	v_cvt_f32_f16_sdwa v9, v12 dst_sel:DWORD dst_unused:UNUSED_PAD src0_sel:WORD_1
	v_cvt_f32_f16_sdwa v10, v13 dst_sel:DWORD dst_unused:UNUSED_PAD src0_sel:WORD_1
	v_cvt_f32_f16_e32 v11, v12
	v_cvt_f32_f16_e32 v4, v15
	v_cvt_f32_f16_sdwa v5, v14 dst_sel:DWORD dst_unused:UNUSED_PAD src0_sel:WORD_1
	v_cvt_f32_f16_sdwa v6, v15 dst_sel:DWORD dst_unused:UNUSED_PAD src0_sel:WORD_1
	v_cvt_f32_f16_e32 v7, v14
.LBB22_2:
	s_or_b64 exec, exec, s[6:7]
	s_load_dword s16, s[0:1], 0x20
	s_and_b32 s0, 0xffff, s9
	v_add_u32_e32 v1, s0, v0
	v_lshlrev_b32_e32 v3, 3, v1
	v_cmp_gt_u32_e64 s[0:1], s8, v3
	v_lshlrev_b32_e32 v19, 4, v1
	v_mov_b32_e32 v14, 0
	v_mov_b32_e32 v12, 0
	;; [unrolled: 1-line block ×7, first 2 shown]
	s_and_saveexec_b64 s[6:7], s[0:1]
	s_cbranch_execz .LBB22_4
; %bb.3:
	global_load_dwordx4 v[20:23], v19, s[4:5]
	s_waitcnt vmcnt(0)
	v_cvt_f32_f16_e32 v13, v20
	v_cvt_f32_f16_sdwa v17, v20 dst_sel:DWORD dst_unused:UNUSED_PAD src0_sel:WORD_1
	v_cvt_f32_f16_e32 v3, v21
	v_cvt_f32_f16_sdwa v15, v21 dst_sel:DWORD dst_unused:UNUSED_PAD src0_sel:WORD_1
	;; [unrolled: 2-line block ×4, first 2 shown]
.LBB22_4:
	s_or_b64 exec, exec, s[6:7]
	v_pk_add_f32 v[20:21], v[8:9], v[10:11] neg_lo:[0,1] neg_hi:[0,1]
	v_pk_add_f32 v[22:23], v[8:9], v[10:11]
	v_pk_add_f32 v[8:9], v[10:11], v[8:9] neg_lo:[0,1] neg_hi:[0,1]
	v_pk_add_f32 v[24:25], v[4:5], v[6:7] neg_lo:[0,1] neg_hi:[0,1]
	v_pk_add_f32 v[26:27], v[4:5], v[6:7]
	v_pk_add_f32 v[4:5], v[6:7], v[4:5] neg_lo:[0,1] neg_hi:[0,1]
	v_pk_mov_b32 v[10:11], v[8:9], v[22:23] op_sel:[1,0]
	v_pk_mov_b32 v[6:7], v[4:5], v[26:27] op_sel:[1,0]
	v_mov_b32_e32 v8, v5
	v_mov_b32_e32 v4, v24
	;; [unrolled: 1-line block ×3, first 2 shown]
	v_mbcnt_lo_u32_b32 v1, -1, 0
	v_mov_b32_e32 v28, v26
	v_mov_b32_e32 v29, v22
	;; [unrolled: 1-line block ×4, first 2 shown]
	v_pk_add_f32 v[32:33], v[14:15], v[2:3]
	v_pk_add_f32 v[4:5], v[8:9], v[4:5] neg_lo:[0,1] neg_hi:[0,1]
	v_pk_add_f32 v[8:9], v[12:13], v[16:17] neg_lo:[0,1] neg_hi:[0,1]
	;; [unrolled: 1-line block ×3, first 2 shown]
	v_mbcnt_hi_u32_b32 v42, -1, v1
	v_pk_add_f32 v[28:29], v[28:29], v[30:31]
	v_pk_add_f32 v[30:31], v[16:17], v[12:13]
	;; [unrolled: 1-line block ×3, first 2 shown]
	v_pk_add_f32 v[2:3], v[8:9], v[2:3] neg_lo:[0,1] neg_hi:[0,1]
	v_and_b32_e32 v1, 64, v42
	v_add_f32_e32 v17, v2, v3
	v_sub_f32_e32 v41, v3, v2
	v_add_u32_e32 v43, 64, v1
	v_and_b32_e32 v2, 1, v0
	v_xor_b32_e32 v1, 1, v42
	v_cmp_lt_i32_e64 s[4:5], v1, v43
	v_cmp_eq_u32_e64 s[14:15], 0, v2
	v_pk_add_f32 v[2:3], v[20:21], v[10:11]
	v_xor_b32_e32 v20, 2, v42
	v_add_f32_e32 v15, v12, v13
	v_sub_f32_e32 v39, v13, v12
	v_add_f32_e32 v12, v4, v5
	v_sub_f32_e32 v13, v5, v4
	v_cndmask_b32_e64 v1, v42, v1, s[4:5]
	v_pk_add_f32 v[4:5], v[22:23], v[10:11] neg_lo:[0,1] neg_hi:[0,1]
	v_cmp_lt_i32_e64 s[4:5], v20, v43
	v_mov_b32_e32 v3, v5
	v_pk_add_f32 v[4:5], v[24:25], v[6:7]
	v_pk_add_f32 v[6:7], v[26:27], v[6:7] neg_lo:[0,1] neg_hi:[0,1]
	v_cndmask_b32_e64 v20, v42, v20, s[4:5]
	v_mov_b32_e32 v5, v7
	v_lshlrev_b32_e32 v21, 2, v20
	v_xor_b32_e32 v20, 4, v42
	v_pk_add_f32 v[34:35], v[32:33], v[30:31]
	v_pk_add_f32 v[30:31], v[30:31], v[32:33] neg_lo:[0,1] neg_hi:[0,1]
	v_add_f32_e32 v8, v28, v29
	v_lshlrev_b32_e32 v1, 2, v1
	v_pk_add_f32 v[6:7], v[2:3], v[4:5] neg_lo:[0,1] neg_hi:[0,1]
	v_pk_add_f32 v[2:3], v[4:5], v[2:3]
	v_cmp_lt_i32_e64 s[4:5], v20, v43
	v_sub_f32_e32 v9, v29, v28
	v_sub_f32_e32 v40, v31, v30
	ds_bpermute_b32 v28, v1, v8
	ds_bpermute_b32 v29, v1, v2
	;; [unrolled: 1-line block ×4, first 2 shown]
	v_cndmask_b32_e64 v20, v42, v20, s[4:5]
	v_add_f32_e32 v16, v30, v31
	v_cndmask_b32_e64 v30, -v8, v8, s[14:15]
	ds_bpermute_b32 v27, v1, v6
	v_cndmask_b32_e64 v33, -v6, v6, s[14:15]
	ds_bpermute_b32 v6, v1, v40
	v_cndmask_b32_e64 v8, -v40, v40, s[14:15]
	v_lshlrev_b32_e32 v40, 2, v20
	v_xor_b32_e32 v20, 8, v42
	v_cmp_lt_i32_e64 s[4:5], v20, v43
	v_cndmask_b32_e64 v31, -v2, v2, s[14:15]
	v_cndmask_b32_e64 v24, -v3, v3, s[14:15]
	v_cndmask_b32_e64 v20, v42, v20, s[4:5]
	v_cndmask_b32_e64 v25, -v12, v12, s[14:15]
	v_lshlrev_b32_e32 v44, 2, v20
	v_xor_b32_e32 v20, 16, v42
	v_cmp_lt_i32_e64 s[4:5], v20, v43
	s_waitcnt lgkmcnt(0)
	v_pk_add_f32 v[22:23], v[24:25], v[22:23]
	v_pk_add_f32 v[24:25], v[30:31], v[28:29]
	v_cndmask_b32_e64 v20, v42, v20, s[4:5]
	ds_bpermute_b32 v28, v21, v24
	ds_bpermute_b32 v29, v21, v25
	;; [unrolled: 1-line block ×4, first 2 shown]
	v_sub_f32_e32 v38, v35, v34
	v_lshlrev_b32_e32 v46, 2, v20
	v_xor_b32_e32 v20, 32, v42
	ds_bpermute_b32 v2, v1, v38
	v_cndmask_b32_e64 v4, -v38, v38, s[14:15]
	v_and_b32_e32 v38, 2, v0
	v_cmp_lt_i32_e64 s[4:5], v20, v43
	ds_bpermute_b32 v3, v1, v39
	v_cndmask_b32_e64 v5, -v39, v39, s[14:15]
	v_cndmask_b32_e64 v20, v42, v20, s[4:5]
	v_cmp_eq_u32_e64 s[4:5], 0, v38
	v_and_b32_e32 v39, 4, v0
	v_cmp_eq_u32_e64 s[6:7], 0, v39
	v_cndmask_b32_e64 v25, -v25, v25, s[4:5]
	v_cndmask_b32_e64 v24, -v24, v24, s[4:5]
	;; [unrolled: 1-line block ×4, first 2 shown]
	s_waitcnt lgkmcnt(2)
	v_pk_add_f32 v[22:23], v[22:23], v[30:31]
	v_pk_add_f32 v[24:25], v[24:25], v[28:29]
	ds_bpermute_b32 v28, v40, v24
	ds_bpermute_b32 v29, v40, v25
	;; [unrolled: 1-line block ×4, first 2 shown]
	v_cndmask_b32_e64 v25, -v25, v25, s[6:7]
	v_cndmask_b32_e64 v24, -v24, v24, s[6:7]
	;; [unrolled: 1-line block ×4, first 2 shown]
	s_waitcnt lgkmcnt(0)
	v_pk_add_f32 v[22:23], v[22:23], v[30:31]
	v_pk_add_f32 v[24:25], v[24:25], v[28:29]
	ds_bpermute_b32 v28, v44, v24
	ds_bpermute_b32 v29, v44, v25
	;; [unrolled: 1-line block ×4, first 2 shown]
	v_add_f32_e32 v14, v34, v35
	ds_bpermute_b32 v26, v1, v9
	v_cndmask_b32_e64 v32, -v9, v9, s[14:15]
	ds_bpermute_b32 v34, v1, v7
	v_cndmask_b32_e64 v36, -v7, v7, s[14:15]
	;; [unrolled: 2-line block ×3, first 2 shown]
	v_and_b32_e32 v41, 8, v0
	v_cmp_eq_u32_e64 s[8:9], 0, v41
	v_and_b32_e32 v45, 16, v0
	v_cmp_eq_u32_e64 s[10:11], 0, v45
	v_cndmask_b32_e64 v25, -v25, v25, s[8:9]
	v_cndmask_b32_e64 v24, -v24, v24, s[8:9]
	;; [unrolled: 1-line block ×4, first 2 shown]
	s_waitcnt lgkmcnt(3)
	v_pk_add_f32 v[22:23], v[22:23], v[30:31]
	v_pk_add_f32 v[24:25], v[24:25], v[28:29]
	ds_bpermute_b32 v28, v46, v24
	ds_bpermute_b32 v29, v46, v25
	;; [unrolled: 1-line block ×4, first 2 shown]
	v_cndmask_b32_e64 v25, -v25, v25, s[10:11]
	v_cndmask_b32_e64 v24, -v24, v24, s[10:11]
	;; [unrolled: 1-line block ×4, first 2 shown]
	v_lshlrev_b32_e32 v42, 2, v20
	s_waitcnt lgkmcnt(0)
	v_pk_add_f32 v[22:23], v[22:23], v[30:31]
	v_pk_add_f32 v[24:25], v[24:25], v[28:29]
	ds_bpermute_b32 v28, v42, v24
	ds_bpermute_b32 v29, v42, v25
	ds_bpermute_b32 v30, v42, v22
	ds_bpermute_b32 v31, v42, v23
	ds_bpermute_b32 v35, v1, v13
	v_cndmask_b32_e64 v37, -v13, v13, s[14:15]
	ds_bpermute_b32 v10, v1, v14
	v_cndmask_b32_e64 v12, -v14, v14, s[14:15]
	ds_bpermute_b32 v11, v1, v15
	;; [unrolled: 2-line block ×3, first 2 shown]
	ds_bpermute_b32 v15, v1, v17
	v_and_b32_e32 v47, 32, v0
	v_lshrrev_b32_e32 v20, 6, v0
	v_cmp_eq_u32_e64 s[12:13], 0, v47
	v_and_b32_e32 v43, 3, v0
	v_lshrrev_b32_e32 v48, 2, v0
	v_xor_b32_e32 v0, v20, v0
	v_cndmask_b32_e64 v39, -v25, v25, s[12:13]
	v_cndmask_b32_e64 v38, -v24, v24, s[12:13]
	;; [unrolled: 1-line block ×6, first 2 shown]
	v_lshl_add_u32 v20, v0, 4, 0
	s_waitcnt lgkmcnt(5)
	v_pk_add_f32 v[24:25], v[22:23], v[30:31]
	v_pk_add_f32 v[22:23], v[38:39], v[28:29]
	s_waitcnt lgkmcnt(0)
	s_barrier
	ds_write_b128 v20, v[22:25]
	v_pk_add_f32 v[22:23], v[36:37], v[34:35]
	v_pk_add_f32 v[24:25], v[32:33], v[26:27]
	;; [unrolled: 1-line block ×6, first 2 shown]
	ds_bpermute_b32 v26, v21, v24
	ds_bpermute_b32 v27, v21, v25
	ds_bpermute_b32 v28, v21, v22
	ds_bpermute_b32 v29, v21, v23
	ds_bpermute_b32 v12, v21, v10
	ds_bpermute_b32 v13, v21, v11
	ds_bpermute_b32 v16, v21, v14
	ds_bpermute_b32 v17, v21, v15
	ds_bpermute_b32 v4, v21, v2
	ds_bpermute_b32 v5, v21, v3
	ds_bpermute_b32 v8, v21, v6
	ds_bpermute_b32 v9, v21, v7
	v_cndmask_b32_e64 v25, -v25, v25, s[4:5]
	v_cndmask_b32_e64 v24, -v24, v24, s[4:5]
	v_cndmask_b32_e64 v23, -v23, v23, s[4:5]
	v_cndmask_b32_e64 v22, -v22, v22, s[4:5]
	v_cndmask_b32_e64 v11, -v11, v11, s[4:5]
	v_cndmask_b32_e64 v10, -v10, v10, s[4:5]
	v_cndmask_b32_e64 v15, -v15, v15, s[4:5]
	v_cndmask_b32_e64 v14, -v14, v14, s[4:5]
	v_cndmask_b32_e64 v3, -v3, v3, s[4:5]
	v_cndmask_b32_e64 v2, -v2, v2, s[4:5]
	v_cndmask_b32_e64 v7, -v7, v7, s[4:5]
	v_cndmask_b32_e64 v6, -v6, v6, s[4:5]
	s_waitcnt lgkmcnt(8)
	v_pk_add_f32 v[22:23], v[22:23], v[28:29]
	v_pk_add_f32 v[24:25], v[24:25], v[26:27]
	s_waitcnt lgkmcnt(4)
	v_pk_add_f32 v[14:15], v[14:15], v[16:17]
	v_pk_add_f32 v[10:11], v[10:11], v[12:13]
	s_waitcnt lgkmcnt(0)
	v_pk_add_f32 v[6:7], v[6:7], v[8:9]
	v_pk_add_f32 v[2:3], v[2:3], v[4:5]
	ds_bpermute_b32 v26, v40, v24
	ds_bpermute_b32 v27, v40, v25
	ds_bpermute_b32 v28, v40, v22
	ds_bpermute_b32 v29, v40, v23
	ds_bpermute_b32 v12, v40, v10
	ds_bpermute_b32 v13, v40, v11
	ds_bpermute_b32 v16, v40, v14
	ds_bpermute_b32 v17, v40, v15
	ds_bpermute_b32 v4, v40, v2
	ds_bpermute_b32 v5, v40, v3
	ds_bpermute_b32 v8, v40, v6
	ds_bpermute_b32 v9, v40, v7
	v_cndmask_b32_e64 v25, -v25, v25, s[6:7]
	v_cndmask_b32_e64 v24, -v24, v24, s[6:7]
	v_cndmask_b32_e64 v23, -v23, v23, s[6:7]
	v_cndmask_b32_e64 v22, -v22, v22, s[6:7]
	v_cndmask_b32_e64 v11, -v11, v11, s[6:7]
	v_cndmask_b32_e64 v10, -v10, v10, s[6:7]
	v_cndmask_b32_e64 v15, -v15, v15, s[6:7]
	v_cndmask_b32_e64 v14, -v14, v14, s[6:7]
	v_cndmask_b32_e64 v3, -v3, v3, s[6:7]
	v_cndmask_b32_e64 v2, -v2, v2, s[6:7]
	v_cndmask_b32_e64 v7, -v7, v7, s[6:7]
	v_cndmask_b32_e64 v6, -v6, v6, s[6:7]
	s_waitcnt lgkmcnt(8)
	v_pk_add_f32 v[22:23], v[22:23], v[28:29]
	v_pk_add_f32 v[24:25], v[24:25], v[26:27]
	s_waitcnt lgkmcnt(4)
	v_pk_add_f32 v[14:15], v[14:15], v[16:17]
	v_pk_add_f32 v[10:11], v[10:11], v[12:13]
	s_waitcnt lgkmcnt(0)
	v_pk_add_f32 v[6:7], v[6:7], v[8:9]
	v_pk_add_f32 v[2:3], v[2:3], v[4:5]
	;; [unrolled: 33-line block ×4, first 2 shown]
	ds_bpermute_b32 v26, v42, v24
	ds_bpermute_b32 v27, v42, v25
	;; [unrolled: 1-line block ×12, first 2 shown]
	v_lshlrev_b32_e32 v0, 6, v43
	v_bitop3_b32 v0, v0, v43, v48 bitop3:0x36
	v_cndmask_b32_e64 v31, -v25, v25, s[12:13]
	v_cndmask_b32_e64 v30, -v24, v24, s[12:13]
	;; [unrolled: 1-line block ×12, first 2 shown]
	s_waitcnt lgkmcnt(8)
	v_pk_add_f32 v[24:25], v[22:23], v[28:29]
	v_pk_add_f32 v[22:23], v[30:31], v[26:27]
	s_waitcnt lgkmcnt(4)
	v_pk_add_f32 v[12:13], v[14:15], v[12:13]
	v_pk_add_f32 v[10:11], v[10:11], v[16:17]
	;; [unrolled: 3-line block ×3, first 2 shown]
	v_lshl_add_u32 v26, v0, 4, 0
	ds_write_b128 v20, v[22:25] offset:4096
	ds_write_b128 v20, v[10:13] offset:8192
	;; [unrolled: 1-line block ×3, first 2 shown]
	s_waitcnt lgkmcnt(0)
	s_barrier
	ds_read_b128 v[2:5], v26
	ds_read_b128 v[6:9], v26 offset:4096
	s_mul_i32 s3, s22, s3
	s_mov_b32 s17, s16
	s_waitcnt lgkmcnt(1)
	ds_bpermute_b32 v10, v1, v2
	ds_bpermute_b32 v11, v1, v3
	ds_bpermute_b32 v12, v1, v4
	ds_bpermute_b32 v13, v1, v5
	v_cndmask_b32_e64 v3, -v3, v3, s[14:15]
	v_cndmask_b32_e64 v2, -v2, v2, s[14:15]
	v_cndmask_b32_e64 v5, -v5, v5, s[14:15]
	v_cndmask_b32_e64 v4, -v4, v4, s[14:15]
	s_waitcnt lgkmcnt(0)
	v_pk_add_f32 v[4:5], v[4:5], v[12:13]
	v_pk_add_f32 v[2:3], v[2:3], v[10:11]
	ds_bpermute_b32 v10, v21, v2
	ds_bpermute_b32 v11, v21, v3
	ds_bpermute_b32 v12, v21, v4
	ds_bpermute_b32 v13, v21, v5
	v_cndmask_b32_e64 v3, -v3, v3, s[4:5]
	v_cndmask_b32_e64 v2, -v2, v2, s[4:5]
	v_cndmask_b32_e64 v5, -v5, v5, s[4:5]
	v_cndmask_b32_e64 v4, -v4, v4, s[4:5]
	s_waitcnt lgkmcnt(0)
	v_pk_add_f32 v[4:5], v[4:5], v[12:13]
	v_pk_add_f32 v[2:3], v[2:3], v[10:11]
	;; [unrolled: 11-line block ×3, first 2 shown]
	ds_bpermute_b32 v10, v21, v6
	ds_bpermute_b32 v11, v21, v7
	ds_bpermute_b32 v14, v21, v12
	ds_bpermute_b32 v15, v21, v13
	v_cndmask_b32_e64 v17, -v7, v7, s[4:5]
	v_cndmask_b32_e64 v16, -v6, v6, s[4:5]
	ds_read_b128 v[6:9], v26 offset:8192
	v_cndmask_b32_e64 v13, -v13, v13, s[4:5]
	v_cndmask_b32_e64 v12, -v12, v12, s[4:5]
	s_waitcnt lgkmcnt(1)
	v_pk_add_f32 v[12:13], v[12:13], v[14:15]
	v_pk_add_f32 v[10:11], v[16:17], v[10:11]
	ds_read_b128 v[14:17], v26 offset:12288
	s_waitcnt lgkmcnt(1)
	ds_bpermute_b32 v22, v1, v6
	ds_bpermute_b32 v23, v1, v7
	v_cndmask_b32_e64 v7, -v7, v7, s[14:15]
	v_cndmask_b32_e64 v6, -v6, v6, s[14:15]
	ds_bpermute_b32 v24, v1, v8
	ds_bpermute_b32 v25, v1, v9
	s_waitcnt lgkmcnt(2)
	v_pk_add_f32 v[6:7], v[6:7], v[22:23]
	ds_bpermute_b32 v22, v21, v6
	ds_bpermute_b32 v23, v21, v7
	v_cndmask_b32_e64 v7, -v7, v7, s[4:5]
	v_cndmask_b32_e64 v6, -v6, v6, s[4:5]
	ds_bpermute_b32 v0, v1, v16
	v_cndmask_b32_e64 v9, -v9, v9, s[14:15]
	s_waitcnt lgkmcnt(1)
	v_pk_add_f32 v[6:7], v[6:7], v[22:23]
	ds_bpermute_b32 v22, v1, v14
	ds_bpermute_b32 v23, v1, v15
	;; [unrolled: 1-line block ×3, first 2 shown]
	v_cndmask_b32_e64 v8, -v8, v8, s[14:15]
	v_cndmask_b32_e64 v15, -v15, v15, s[14:15]
	;; [unrolled: 1-line block ×3, first 2 shown]
	v_pk_add_f32 v[8:9], v[8:9], v[24:25]
	v_cndmask_b32_e64 v17, -v17, v17, s[14:15]
	v_cndmask_b32_e64 v16, -v16, v16, s[14:15]
	s_waitcnt lgkmcnt(1)
	v_pk_add_f32 v[14:15], v[14:15], v[22:23]
	ds_bpermute_b32 v24, v21, v8
	ds_bpermute_b32 v25, v21, v9
	s_waitcnt lgkmcnt(2)
	v_pk_add_f32 v[0:1], v[16:17], v[0:1]
	ds_bpermute_b32 v22, v21, v14
	ds_bpermute_b32 v23, v21, v15
	;; [unrolled: 1-line block ×4, first 2 shown]
	v_cndmask_b32_e64 v9, -v9, v9, s[4:5]
	v_cndmask_b32_e64 v8, -v8, v8, s[4:5]
	;; [unrolled: 1-line block ×4, first 2 shown]
	s_waitcnt lgkmcnt(4)
	v_pk_add_f32 v[8:9], v[8:9], v[24:25]
	v_cndmask_b32_e64 v1, -v1, v1, s[4:5]
	v_cndmask_b32_e64 v0, -v0, v0, s[4:5]
	s_waitcnt lgkmcnt(2)
	v_pk_add_f32 v[14:15], v[14:15], v[22:23]
	s_waitcnt lgkmcnt(0)
	v_pk_add_f32 v[16:17], v[0:1], v[16:17]
	s_barrier
	ds_write_b128 v26, v[2:5]
	ds_write_b128 v26, v[10:13] offset:4096
	ds_write_b128 v26, v[6:9] offset:8192
	;; [unrolled: 1-line block ×3, first 2 shown]
	s_waitcnt lgkmcnt(0)
	s_barrier
	ds_read_b128 v[8:11], v20
	ds_read_b128 v[0:3], v20 offset:4096
	ds_read_b128 v[12:15], v20 offset:8192
	;; [unrolled: 1-line block ×3, first 2 shown]
	s_mul_hi_u32 s4, s22, s2
	s_add_i32 s3, s4, s3
	s_mul_i32 s4, s23, s2
	s_add_i32 s3, s3, s4
	s_mul_i32 s2, s22, s2
	s_lshl_b64 s[2:3], s[2:3], 1
	s_add_u32 s2, s18, s2
	s_addc_u32 s3, s19, s3
	s_and_saveexec_b64 s[4:5], vcc
	s_cbranch_execnz .LBB22_7
; %bb.5:
	s_or_b64 exec, exec, s[4:5]
	s_and_saveexec_b64 s[4:5], s[0:1]
	s_cbranch_execnz .LBB22_8
.LBB22_6:
	s_endpgm
.LBB22_7:
	s_waitcnt lgkmcnt(1)
	v_pk_add_f32 v[16:17], v[10:11], v[14:15]
	v_pk_add_f32 v[20:21], v[8:9], v[12:13]
	s_mov_b32 s6, s16
	s_mov_b32 s7, s16
	v_pk_mul_f32 v[16:17], s[6:7], v[16:17]
	v_pk_mul_f32 v[22:23], s[16:17], v[20:21]
	v_cvt_pk_f16_f32 v21, v16, v17
	v_cvt_pk_f16_f32 v20, v22, v23
	s_waitcnt lgkmcnt(0)
	v_pk_add_f32 v[16:17], v[2:3], v[6:7]
	v_pk_add_f32 v[22:23], v[0:1], v[4:5]
	v_pk_mul_f32 v[16:17], s[6:7], v[16:17]
	v_pk_mul_f32 v[24:25], s[16:17], v[22:23]
	v_cvt_pk_f16_f32 v23, v16, v17
	v_cvt_pk_f16_f32 v22, v24, v25
	global_store_dwordx4 v18, v[20:23], s[2:3]
	s_or_b64 exec, exec, s[4:5]
	s_and_saveexec_b64 s[4:5], s[0:1]
	s_cbranch_execz .LBB22_6
.LBB22_8:
	s_waitcnt lgkmcnt(1)
	v_sub_f32_e32 v11, v11, v15
	v_sub_f32_e32 v10, v10, v14
	;; [unrolled: 1-line block ×4, first 2 shown]
	s_mov_b32 s0, s16
	s_mov_b32 s1, s16
	s_waitcnt lgkmcnt(0)
	v_sub_f32_e32 v3, v3, v7
	v_sub_f32_e32 v2, v2, v6
	;; [unrolled: 1-line block ×4, first 2 shown]
	v_pk_mul_f32 v[12:13], s[16:17], v[8:9]
	v_pk_mul_f32 v[8:9], s[0:1], v[10:11]
	;; [unrolled: 1-line block ×4, first 2 shown]
	v_cvt_pk_f16_f32 v9, v8, v9
	v_cvt_pk_f16_f32 v8, v12, v13
	;; [unrolled: 1-line block ×4, first 2 shown]
	global_store_dwordx4 v19, v[8:11], s[2:3]
	s_endpgm
	.section	.rodata,"a",@progbits
	.p2align	6, 0x0
	.amdhsa_kernel _Z30fast_hadamard_transform_kernelI37fast_hadamard_transform_kernel_traitsILi256ELi12E6__halfEEv18HadamardParamsBase
		.amdhsa_group_segment_fixed_size 0
		.amdhsa_private_segment_fixed_size 0
		.amdhsa_kernarg_size 312
		.amdhsa_user_sgpr_count 2
		.amdhsa_user_sgpr_dispatch_ptr 0
		.amdhsa_user_sgpr_queue_ptr 0
		.amdhsa_user_sgpr_kernarg_segment_ptr 1
		.amdhsa_user_sgpr_dispatch_id 0
		.amdhsa_user_sgpr_kernarg_preload_length 0
		.amdhsa_user_sgpr_kernarg_preload_offset 0
		.amdhsa_user_sgpr_private_segment_size 0
		.amdhsa_uses_dynamic_stack 0
		.amdhsa_enable_private_segment 0
		.amdhsa_system_sgpr_workgroup_id_x 1
		.amdhsa_system_sgpr_workgroup_id_y 0
		.amdhsa_system_sgpr_workgroup_id_z 0
		.amdhsa_system_sgpr_workgroup_info 0
		.amdhsa_system_vgpr_workitem_id 0
		.amdhsa_next_free_vgpr 49
		.amdhsa_next_free_sgpr 24
		.amdhsa_accum_offset 52
		.amdhsa_reserve_vcc 1
		.amdhsa_float_round_mode_32 0
		.amdhsa_float_round_mode_16_64 0
		.amdhsa_float_denorm_mode_32 3
		.amdhsa_float_denorm_mode_16_64 3
		.amdhsa_dx10_clamp 1
		.amdhsa_ieee_mode 1
		.amdhsa_fp16_overflow 0
		.amdhsa_tg_split 0
		.amdhsa_exception_fp_ieee_invalid_op 0
		.amdhsa_exception_fp_denorm_src 0
		.amdhsa_exception_fp_ieee_div_zero 0
		.amdhsa_exception_fp_ieee_overflow 0
		.amdhsa_exception_fp_ieee_underflow 0
		.amdhsa_exception_fp_ieee_inexact 0
		.amdhsa_exception_int_div_zero 0
	.end_amdhsa_kernel
	.section	.text._Z30fast_hadamard_transform_kernelI37fast_hadamard_transform_kernel_traitsILi256ELi12E6__halfEEv18HadamardParamsBase,"axG",@progbits,_Z30fast_hadamard_transform_kernelI37fast_hadamard_transform_kernel_traitsILi256ELi12E6__halfEEv18HadamardParamsBase,comdat
.Lfunc_end22:
	.size	_Z30fast_hadamard_transform_kernelI37fast_hadamard_transform_kernel_traitsILi256ELi12E6__halfEEv18HadamardParamsBase, .Lfunc_end22-_Z30fast_hadamard_transform_kernelI37fast_hadamard_transform_kernel_traitsILi256ELi12E6__halfEEv18HadamardParamsBase
                                        ; -- End function
	.set _Z30fast_hadamard_transform_kernelI37fast_hadamard_transform_kernel_traitsILi256ELi12E6__halfEEv18HadamardParamsBase.num_vgpr, 49
	.set _Z30fast_hadamard_transform_kernelI37fast_hadamard_transform_kernel_traitsILi256ELi12E6__halfEEv18HadamardParamsBase.num_agpr, 0
	.set _Z30fast_hadamard_transform_kernelI37fast_hadamard_transform_kernel_traitsILi256ELi12E6__halfEEv18HadamardParamsBase.numbered_sgpr, 24
	.set _Z30fast_hadamard_transform_kernelI37fast_hadamard_transform_kernel_traitsILi256ELi12E6__halfEEv18HadamardParamsBase.num_named_barrier, 0
	.set _Z30fast_hadamard_transform_kernelI37fast_hadamard_transform_kernel_traitsILi256ELi12E6__halfEEv18HadamardParamsBase.private_seg_size, 0
	.set _Z30fast_hadamard_transform_kernelI37fast_hadamard_transform_kernel_traitsILi256ELi12E6__halfEEv18HadamardParamsBase.uses_vcc, 1
	.set _Z30fast_hadamard_transform_kernelI37fast_hadamard_transform_kernel_traitsILi256ELi12E6__halfEEv18HadamardParamsBase.uses_flat_scratch, 0
	.set _Z30fast_hadamard_transform_kernelI37fast_hadamard_transform_kernel_traitsILi256ELi12E6__halfEEv18HadamardParamsBase.has_dyn_sized_stack, 0
	.set _Z30fast_hadamard_transform_kernelI37fast_hadamard_transform_kernel_traitsILi256ELi12E6__halfEEv18HadamardParamsBase.has_recursion, 0
	.set _Z30fast_hadamard_transform_kernelI37fast_hadamard_transform_kernel_traitsILi256ELi12E6__halfEEv18HadamardParamsBase.has_indirect_call, 0
	.section	.AMDGPU.csdata,"",@progbits
; Kernel info:
; codeLenInByte = 4064
; TotalNumSgprs: 30
; NumVgprs: 49
; NumAgprs: 0
; TotalNumVgprs: 49
; ScratchSize: 0
; MemoryBound: 0
; FloatMode: 240
; IeeeMode: 1
; LDSByteSize: 0 bytes/workgroup (compile time only)
; SGPRBlocks: 3
; VGPRBlocks: 6
; NumSGPRsForWavesPerEU: 30
; NumVGPRsForWavesPerEU: 49
; AccumOffset: 52
; Occupancy: 8
; WaveLimiterHint : 0
; COMPUTE_PGM_RSRC2:SCRATCH_EN: 0
; COMPUTE_PGM_RSRC2:USER_SGPR: 2
; COMPUTE_PGM_RSRC2:TRAP_HANDLER: 0
; COMPUTE_PGM_RSRC2:TGID_X_EN: 1
; COMPUTE_PGM_RSRC2:TGID_Y_EN: 0
; COMPUTE_PGM_RSRC2:TGID_Z_EN: 0
; COMPUTE_PGM_RSRC2:TIDIG_COMP_CNT: 0
; COMPUTE_PGM_RSRC3_GFX90A:ACCUM_OFFSET: 12
; COMPUTE_PGM_RSRC3_GFX90A:TG_SPLIT: 0
	.section	.text._Z30fast_hadamard_transform_kernelI37fast_hadamard_transform_kernel_traitsILi256ELi13E6__halfEEv18HadamardParamsBase,"axG",@progbits,_Z30fast_hadamard_transform_kernelI37fast_hadamard_transform_kernel_traitsILi256ELi13E6__halfEEv18HadamardParamsBase,comdat
	.protected	_Z30fast_hadamard_transform_kernelI37fast_hadamard_transform_kernel_traitsILi256ELi13E6__halfEEv18HadamardParamsBase ; -- Begin function _Z30fast_hadamard_transform_kernelI37fast_hadamard_transform_kernel_traitsILi256ELi13E6__halfEEv18HadamardParamsBase
	.globl	_Z30fast_hadamard_transform_kernelI37fast_hadamard_transform_kernel_traitsILi256ELi13E6__halfEEv18HadamardParamsBase
	.p2align	8
	.type	_Z30fast_hadamard_transform_kernelI37fast_hadamard_transform_kernel_traitsILi256ELi13E6__halfEEv18HadamardParamsBase,@function
_Z30fast_hadamard_transform_kernelI37fast_hadamard_transform_kernel_traitsILi256ELi13E6__halfEEv18HadamardParamsBase: ; @_Z30fast_hadamard_transform_kernelI37fast_hadamard_transform_kernel_traitsILi256ELi13E6__halfEEv18HadamardParamsBase
; %bb.0:
	s_load_dwordx4 s[24:27], s[0:1], 0x10
	s_load_dword s8, s[0:1], 0x4
	s_load_dwordx4 s[20:23], s[0:1], 0x28
	s_ashr_i32 s3, s2, 31
	s_load_dword s9, s[0:1], 0x44
	s_waitcnt lgkmcnt(0)
	s_mul_hi_u32 s4, s24, s2
	s_mul_i32 s5, s24, s3
	s_add_i32 s4, s4, s5
	s_mul_i32 s5, s25, s2
	s_add_i32 s5, s4, s5
	s_mul_i32 s4, s24, s2
	s_lshl_b64 s[4:5], s[4:5], 1
	s_add_u32 s6, s20, s4
	v_lshlrev_b32_e32 v1, 3, v0
	s_addc_u32 s7, s21, s5
	v_cmp_gt_u32_e64 s[20:21], s8, v1
	v_mov_b32_e32 v26, 0
	v_lshlrev_b32_e32 v50, 4, v0
	v_mov_b32_e32 v22, 0
	v_mov_b32_e32 v23, 0
	;; [unrolled: 1-line block ×8, first 2 shown]
	s_and_saveexec_b64 s[4:5], s[20:21]
	s_cbranch_execz .LBB23_2
; %bb.1:
	global_load_dwordx4 v[2:5], v50, s[6:7]
	s_waitcnt vmcnt(0)
	v_cvt_f32_f16_e32 v14, v3
	v_cvt_f32_f16_sdwa v15, v2 dst_sel:DWORD dst_unused:UNUSED_PAD src0_sel:WORD_1
	v_cvt_f32_f16_sdwa v16, v3 dst_sel:DWORD dst_unused:UNUSED_PAD src0_sel:WORD_1
	v_cvt_f32_f16_e32 v17, v2
	v_cvt_f32_f16_e32 v22, v5
	v_cvt_f32_f16_sdwa v23, v4 dst_sel:DWORD dst_unused:UNUSED_PAD src0_sel:WORD_1
	v_cvt_f32_f16_sdwa v24, v5 dst_sel:DWORD dst_unused:UNUSED_PAD src0_sel:WORD_1
	v_cvt_f32_f16_e32 v25, v4
.LBB23_2:
	s_or_b64 exec, exec, s[4:5]
	s_and_b32 s9, 0xffff, s9
	v_add_u32_e32 v1, s9, v0
	v_lshlrev_b32_e32 v2, 3, v1
	v_cmp_gt_u32_e32 vcc, s8, v2
	v_lshlrev_b32_e32 v48, 4, v1
	v_mov_b32_e32 v27, 0
	v_mov_b32_e32 v32, 0
	;; [unrolled: 1-line block ×7, first 2 shown]
	s_and_saveexec_b64 s[4:5], vcc
	s_cbranch_execz .LBB23_4
; %bb.3:
	global_load_dwordx4 v[2:5], v48, s[6:7]
	s_waitcnt vmcnt(0)
	v_cvt_f32_f16_e32 v28, v3
	v_cvt_f32_f16_sdwa v29, v2 dst_sel:DWORD dst_unused:UNUSED_PAD src0_sel:WORD_1
	v_cvt_f32_f16_sdwa v30, v3 dst_sel:DWORD dst_unused:UNUSED_PAD src0_sel:WORD_1
	v_cvt_f32_f16_e32 v31, v2
	v_cvt_f32_f16_e32 v26, v5
	v_cvt_f32_f16_sdwa v27, v4 dst_sel:DWORD dst_unused:UNUSED_PAD src0_sel:WORD_1
	v_cvt_f32_f16_sdwa v32, v5 dst_sel:DWORD dst_unused:UNUSED_PAD src0_sel:WORD_1
	v_cvt_f32_f16_e32 v33, v4
.LBB23_4:
	s_or_b64 exec, exec, s[4:5]
	v_add_u32_e32 v1, s9, v1
	v_lshlrev_b32_e32 v2, 3, v1
	v_cmp_gt_u32_e64 s[18:19], s8, v2
	v_mov_b32_e32 v2, 0
	v_lshlrev_b32_e32 v49, 4, v1
	v_mov_b32_e32 v6, 0
	v_mov_b32_e32 v7, 0
	;; [unrolled: 1-line block ×8, first 2 shown]
	s_and_saveexec_b64 s[4:5], s[18:19]
	s_cbranch_execz .LBB23_6
; %bb.5:
	global_load_dwordx4 v[6:9], v49, s[6:7]
	s_waitcnt vmcnt(0)
	v_cvt_f32_f16_e32 v34, v7
	v_cvt_f32_f16_sdwa v35, v6 dst_sel:DWORD dst_unused:UNUSED_PAD src0_sel:WORD_1
	v_cvt_f32_f16_sdwa v36, v7 dst_sel:DWORD dst_unused:UNUSED_PAD src0_sel:WORD_1
	v_cvt_f32_f16_e32 v37, v6
	v_cvt_f32_f16_e32 v6, v9
	v_cvt_f32_f16_sdwa v7, v8 dst_sel:DWORD dst_unused:UNUSED_PAD src0_sel:WORD_1
	v_cvt_f32_f16_sdwa v12, v9 dst_sel:DWORD dst_unused:UNUSED_PAD src0_sel:WORD_1
	v_cvt_f32_f16_e32 v13, v8
.LBB23_6:
	s_or_b64 exec, exec, s[4:5]
	s_load_dword s24, s[0:1], 0x20
	v_add_u32_e32 v1, s9, v1
	v_lshlrev_b32_e32 v3, 3, v1
	v_cmp_gt_u32_e64 s[4:5], s8, v3
	v_lshlrev_b32_e32 v51, 4, v1
	v_mov_b32_e32 v8, 0
	v_mov_b32_e32 v4, 0
	;; [unrolled: 1-line block ×7, first 2 shown]
	s_and_saveexec_b64 s[0:1], s[4:5]
	s_cbranch_execz .LBB23_8
; %bb.7:
	global_load_dwordx4 v[18:21], v51, s[6:7]
	s_waitcnt vmcnt(0)
	v_cvt_f32_f16_e32 v5, v18
	v_cvt_f32_f16_sdwa v11, v18 dst_sel:DWORD dst_unused:UNUSED_PAD src0_sel:WORD_1
	v_cvt_f32_f16_e32 v3, v19
	v_cvt_f32_f16_sdwa v9, v19 dst_sel:DWORD dst_unused:UNUSED_PAD src0_sel:WORD_1
	;; [unrolled: 2-line block ×4, first 2 shown]
.LBB23_8:
	s_or_b64 exec, exec, s[0:1]
	v_pk_add_f32 v[40:41], v[14:15], v[16:17]
	v_pk_add_f32 v[52:53], v[22:23], v[24:25]
	v_pk_add_f32 v[38:39], v[14:15], v[16:17] neg_lo:[0,1] neg_hi:[0,1]
	v_pk_add_f32 v[42:43], v[16:17], v[14:15] neg_lo:[0,1] neg_hi:[0,1]
	;; [unrolled: 1-line block ×3, first 2 shown]
	v_pk_add_f32 v[20:21], v[28:29], v[30:31]
	v_pk_add_f32 v[30:31], v[30:31], v[28:29] neg_lo:[0,1] neg_hi:[0,1]
	v_pk_add_f32 v[14:15], v[34:35], v[36:37] neg_lo:[0,1] neg_hi:[0,1]
	v_pk_add_f32 v[16:17], v[34:35], v[36:37]
	v_pk_add_f32 v[28:29], v[36:37], v[34:35] neg_lo:[0,1] neg_hi:[0,1]
	v_pk_add_f32 v[46:47], v[22:23], v[24:25] neg_lo:[0,1] neg_hi:[0,1]
	;; [unrolled: 1-line block ×4, first 2 shown]
	v_pk_add_f32 v[24:25], v[26:27], v[32:33]
	v_pk_add_f32 v[26:27], v[32:33], v[26:27] neg_lo:[0,1] neg_hi:[0,1]
	v_mov_b32_e32 v32, v52
	v_mov_b32_e32 v33, v40
	;; [unrolled: 1-line block ×4, first 2 shown]
	v_pk_mov_b32 v[44:45], v[42:43], v[40:41] op_sel:[1,0]
	v_pk_add_f32 v[32:33], v[32:33], v[34:35]
	v_mov_b32_e32 v42, v37
	v_mov_b32_e32 v34, v46
	;; [unrolled: 1-line block ×3, first 2 shown]
	v_pk_add_f32 v[34:35], v[42:43], v[34:35] neg_lo:[0,1] neg_hi:[0,1]
	v_pk_mov_b32 v[42:43], v[36:37], v[52:53] op_sel:[1,0]
	v_mbcnt_lo_u32_b32 v36, -1, 0
	v_mbcnt_hi_u32_b32 v60, -1, v36
	v_and_b32_e32 v36, 64, v60
	v_add_u32_e32 v61, 64, v36
	v_pk_add_f32 v[36:37], v[38:39], v[44:45]
	v_pk_add_f32 v[38:39], v[40:41], v[44:45] neg_lo:[0,1] neg_hi:[0,1]
	v_xor_b32_e32 v37, 1, v60
	v_cmp_lt_i32_e64 s[0:1], v37, v61
	v_add_f32_e32 v1, v32, v33
	v_add_f32_e32 v56, v34, v35
	v_cndmask_b32_e64 v37, v60, v37, s[0:1]
	v_lshlrev_b32_e32 v40, 2, v37
	v_mov_b32_e32 v37, v39
	v_pk_add_f32 v[38:39], v[46:47], v[42:43]
	v_pk_add_f32 v[42:43], v[52:53], v[42:43] neg_lo:[0,1] neg_hi:[0,1]
	ds_bpermute_b32 v44, v40, v1
	v_mov_b32_e32 v39, v43
	v_pk_add_f32 v[42:43], v[38:39], v[36:37]
	ds_bpermute_b32 v45, v40, v42
	ds_bpermute_b32 v46, v40, v43
	;; [unrolled: 1-line block ×3, first 2 shown]
	v_and_b32_e32 v54, 1, v0
	v_xor_b32_e32 v41, 2, v60
	v_cmp_eq_u32_e64 s[6:7], 0, v54
	v_cmp_lt_i32_e64 s[0:1], v41, v61
	s_waitcnt lgkmcnt(0)
	v_cndmask_b32_e64 v54, -v1, v1, s[6:7]
	v_cndmask_b32_e64 v55, -v42, v42, s[6:7]
	;; [unrolled: 1-line block ×4, first 2 shown]
	v_cndmask_b32_e64 v41, v60, v41, s[0:1]
	v_lshlrev_b32_e32 v41, 2, v41
	v_pk_add_f32 v[42:43], v[42:43], v[46:47]
	v_pk_add_f32 v[44:45], v[54:55], v[44:45]
	v_and_b32_e32 v1, 2, v0
	ds_bpermute_b32 v46, v41, v44
	ds_bpermute_b32 v47, v41, v45
	;; [unrolled: 1-line block ×4, first 2 shown]
	v_cmp_eq_u32_e64 s[8:9], 0, v1
	v_and_b32_e32 v1, 4, v0
	v_cmp_eq_u32_e64 s[10:11], 0, v1
	v_cndmask_b32_e64 v54, -v42, v42, s[8:9]
	v_xor_b32_e32 v42, 4, v60
	v_cmp_lt_i32_e64 s[0:1], v42, v61
	v_cndmask_b32_e64 v45, -v45, v45, s[8:9]
	v_cndmask_b32_e64 v44, -v44, v44, s[8:9]
	;; [unrolled: 1-line block ×3, first 2 shown]
	v_cndmask_b32_e64 v42, v60, v42, s[0:1]
	v_lshlrev_b32_e32 v43, 2, v42
	s_waitcnt lgkmcnt(0)
	v_pk_add_f32 v[52:53], v[54:55], v[52:53]
	v_pk_add_f32 v[44:45], v[44:45], v[46:47]
	ds_bpermute_b32 v46, v43, v44
	ds_bpermute_b32 v47, v43, v45
	ds_bpermute_b32 v56, v43, v52
	ds_bpermute_b32 v57, v43, v53
	v_xor_b32_e32 v42, 8, v60
	v_cmp_lt_i32_e64 s[0:1], v42, v61
	v_cndmask_b32_e64 v55, -v45, v45, s[10:11]
	v_cndmask_b32_e64 v54, -v44, v44, s[10:11]
	;; [unrolled: 1-line block ×4, first 2 shown]
	v_cndmask_b32_e64 v42, v60, v42, s[0:1]
	s_waitcnt lgkmcnt(0)
	v_pk_add_f32 v[52:53], v[44:45], v[56:57]
	v_lshlrev_b32_e32 v44, 2, v42
	v_pk_add_f32 v[46:47], v[54:55], v[46:47]
	ds_bpermute_b32 v54, v44, v46
	ds_bpermute_b32 v55, v44, v47
	;; [unrolled: 1-line block ×4, first 2 shown]
	v_and_b32_e32 v1, 8, v0
	v_xor_b32_e32 v42, 16, v60
	v_cmp_eq_u32_e64 s[12:13], 0, v1
	v_cmp_lt_i32_e64 s[0:1], v42, v61
	v_and_b32_e32 v1, 16, v0
	v_cndmask_b32_e64 v47, -v47, v47, s[12:13]
	v_cndmask_b32_e64 v46, -v46, v46, s[12:13]
	;; [unrolled: 1-line block ×4, first 2 shown]
	v_cndmask_b32_e64 v42, v60, v42, s[0:1]
	s_waitcnt lgkmcnt(0)
	v_pk_add_f32 v[52:53], v[52:53], v[56:57]
	v_lshlrev_b32_e32 v45, 2, v42
	v_pk_add_f32 v[46:47], v[46:47], v[54:55]
	ds_bpermute_b32 v54, v45, v46
	ds_bpermute_b32 v55, v45, v47
	;; [unrolled: 1-line block ×4, first 2 shown]
	v_cmp_eq_u32_e64 s[14:15], 0, v1
	v_xor_b32_e32 v1, 32, v60
	v_cmp_lt_i32_e64 s[0:1], v1, v61
	v_cndmask_b32_e64 v59, -v47, v47, s[14:15]
	v_cndmask_b32_e64 v58, -v46, v46, s[14:15]
	;; [unrolled: 1-line block ×4, first 2 shown]
	v_cndmask_b32_e64 v1, v60, v1, s[0:1]
	s_waitcnt lgkmcnt(0)
	v_pk_add_f32 v[52:53], v[46:47], v[56:57]
	v_lshlrev_b32_e32 v46, 2, v1
	v_pk_add_f32 v[54:55], v[58:59], v[54:55]
	ds_bpermute_b32 v56, v46, v54
	ds_bpermute_b32 v57, v46, v55
	;; [unrolled: 1-line block ×4, first 2 shown]
	v_and_b32_e32 v42, 32, v0
	v_cmp_eq_u32_e64 s[16:17], 0, v42
	v_lshrrev_b32_e32 v1, 6, v0
	v_xor_b32_e32 v1, v1, v0
	v_cndmask_b32_e64 v61, -v55, v55, s[16:17]
	v_cndmask_b32_e64 v60, -v54, v54, s[16:17]
	;; [unrolled: 1-line block ×4, first 2 shown]
	s_waitcnt lgkmcnt(0)
	v_pk_add_f32 v[54:55], v[52:53], v[58:59]
	v_pk_add_f32 v[52:53], v[60:61], v[56:57]
	v_lshl_add_u32 v42, v1, 4, 0
	v_pk_add_f32 v[56:57], v[6:7], v[12:13] neg_lo:[0,1] neg_hi:[0,1]
	v_pk_add_f32 v[58:59], v[6:7], v[12:13]
	v_pk_add_f32 v[6:7], v[12:13], v[6:7] neg_lo:[0,1] neg_hi:[0,1]
	s_barrier
	ds_write_b128 v42, v[52:55]
	v_mov_b32_e32 v12, v24
	v_mov_b32_e32 v13, v20
	;; [unrolled: 1-line block ×4, first 2 shown]
	v_pk_add_f32 v[12:13], v[12:13], v[52:53]
	v_mov_b32_e32 v52, v58
	v_mov_b32_e32 v53, v16
	;; [unrolled: 1-line block ×4, first 2 shown]
	v_pk_add_f32 v[52:53], v[52:53], v[54:55]
	v_pk_add_f32 v[54:55], v[10:11], v[4:5]
	;; [unrolled: 1-line block ×3, first 2 shown]
	v_mov_b32_e32 v64, v22
	v_pk_add_f32 v[62:63], v[60:61], v[54:55]
	v_pk_add_f32 v[54:55], v[54:55], v[60:61] neg_lo:[0,1] neg_hi:[0,1]
	v_pk_mov_b32 v[60:61], v[30:31], v[20:21] op_sel:[1,0]
	v_mov_b32_e32 v30, v27
	v_mov_b32_e32 v65, v18
	v_pk_add_f32 v[4:5], v[4:5], v[10:11] neg_lo:[0,1] neg_hi:[0,1]
	v_pk_add_f32 v[2:3], v[2:3], v[8:9] neg_lo:[0,1] neg_hi:[0,1]
	;; [unrolled: 1-line block ×3, first 2 shown]
	v_pk_mov_b32 v[64:65], v[28:29], v[16:17] op_sel:[1,0]
	v_mov_b32_e32 v28, v7
	v_mov_b32_e32 v66, v56
	;; [unrolled: 1-line block ×3, first 2 shown]
	v_pk_add_f32 v[8:9], v[2:3], v[4:5]
	v_pk_add_f32 v[2:3], v[4:5], v[2:3] neg_lo:[0,1] neg_hi:[0,1]
	v_pk_add_f32 v[28:29], v[28:29], v[66:67] neg_lo:[0,1] neg_hi:[0,1]
	;; [unrolled: 1-line block ×3, first 2 shown]
	v_sub_f32_e32 v1, v33, v32
	v_add_f32_e32 v32, v12, v13
	v_sub_f32_e32 v33, v13, v12
	v_add_f32_e32 v66, v62, v63
	;; [unrolled: 2-line block ×3, first 2 shown]
	v_sub_f32_e32 v67, v9, v8
	v_sub_f32_e32 v12, v35, v34
	v_add_f32_e32 v71, v2, v3
	v_sub_f32_e32 v72, v3, v2
	v_pk_add_f32 v[2:3], v[18:19], v[60:61]
	v_pk_add_f32 v[8:9], v[20:21], v[60:61] neg_lo:[0,1] neg_hi:[0,1]
	ds_bpermute_b32 v11, v40, v4
	v_cndmask_b32_e64 v19, -v4, v4, s[6:7]
	v_mov_b32_e32 v3, v9
	ds_bpermute_b32 v4, v40, v5
	v_cndmask_b32_e64 v8, -v5, v5, s[6:7]
	ds_bpermute_b32 v5, v40, v12
	v_cndmask_b32_e64 v9, -v12, v12, s[6:7]
	v_pk_mov_b32 v[12:13], v[26:27], v[24:25] op_sel:[1,0]
	v_sub_f32_e32 v35, v31, v30
	v_pk_add_f32 v[20:21], v[22:23], v[12:13]
	v_pk_add_f32 v[12:13], v[24:25], v[12:13] neg_lo:[0,1] neg_hi:[0,1]
	v_add_f32_e32 v34, v30, v31
	v_mov_b32_e32 v21, v13
	v_pk_add_f32 v[12:13], v[2:3], v[20:21] neg_lo:[0,1] neg_hi:[0,1]
	v_add_f32_e32 v39, v28, v29
	v_sub_f32_e32 v70, v29, v28
	ds_bpermute_b32 v24, v40, v32
	v_cndmask_b32_e64 v26, -v32, v32, s[6:7]
	ds_bpermute_b32 v28, v40, v33
	v_cndmask_b32_e64 v30, -v33, v33, s[6:7]
	ds_bpermute_b32 v29, v40, v12
	ds_bpermute_b32 v32, v40, v13
	;; [unrolled: 1-line block ×3, first 2 shown]
	v_add_f32_e32 v36, v52, v53
	v_sub_f32_e32 v47, v53, v52
	v_add_f32_e32 v68, v54, v55
	v_sub_f32_e32 v69, v55, v54
	ds_bpermute_b32 v53, v40, v34
	v_cndmask_b32_e64 v55, -v34, v34, s[6:7]
	v_cndmask_b32_e64 v31, -v12, v12, s[6:7]
	v_cndmask_b32_e64 v34, -v13, v13, s[6:7]
	v_cndmask_b32_e64 v35, -v35, v35, s[6:7]
	s_waitcnt lgkmcnt(1)
	v_pk_add_f32 v[32:33], v[34:35], v[32:33]
	v_pk_add_f32 v[28:29], v[30:31], v[28:29]
	ds_bpermute_b32 v30, v41, v28
	ds_bpermute_b32 v31, v41, v29
	ds_bpermute_b32 v34, v41, v32
	ds_bpermute_b32 v35, v41, v33
	v_cndmask_b32_e64 v29, -v29, v29, s[8:9]
	v_cndmask_b32_e64 v28, -v28, v28, s[8:9]
	v_cndmask_b32_e64 v33, -v33, v33, s[8:9]
	v_cndmask_b32_e64 v32, -v32, v32, s[8:9]
	s_waitcnt lgkmcnt(0)
	v_pk_add_f32 v[32:33], v[32:33], v[34:35]
	v_pk_add_f32 v[28:29], v[28:29], v[30:31]
	ds_bpermute_b32 v30, v43, v28
	ds_bpermute_b32 v31, v43, v29
	ds_bpermute_b32 v34, v43, v32
	;; [unrolled: 11-line block ×4, first 2 shown]
	ds_bpermute_b32 v35, v45, v33
	v_pk_add_f32 v[2:3], v[20:21], v[2:3]
	ds_bpermute_b32 v25, v40, v2
	ds_bpermute_b32 v52, v40, v3
	v_cndmask_b32_e64 v27, -v2, v2, s[6:7]
	v_cndmask_b32_e64 v54, -v3, v3, s[6:7]
	v_pk_add_f32 v[2:3], v[14:15], v[64:65]
	v_pk_add_f32 v[14:15], v[16:17], v[64:65] neg_lo:[0,1] neg_hi:[0,1]
	v_pk_mov_b32 v[6:7], v[6:7], v[58:59] op_sel:[1,0]
	v_mov_b32_e32 v3, v15
	v_pk_add_f32 v[14:15], v[56:57], v[6:7]
	v_pk_add_f32 v[6:7], v[58:59], v[6:7] neg_lo:[0,1] neg_hi:[0,1]
	v_cndmask_b32_e64 v29, -v29, v29, s[14:15]
	v_cndmask_b32_e64 v28, -v28, v28, s[14:15]
	;; [unrolled: 1-line block ×4, first 2 shown]
	v_mov_b32_e32 v15, v7
	s_waitcnt lgkmcnt(2)
	v_pk_add_f32 v[32:33], v[32:33], v[34:35]
	v_pk_add_f32 v[28:29], v[28:29], v[30:31]
	v_pk_add_f32 v[6:7], v[2:3], v[14:15] neg_lo:[0,1] neg_hi:[0,1]
	v_pk_add_f32 v[2:3], v[14:15], v[2:3]
	ds_bpermute_b32 v34, v46, v28
	ds_bpermute_b32 v35, v46, v29
	;; [unrolled: 1-line block ×5, first 2 shown]
	v_cndmask_b32_e64 v14, -v36, v36, s[6:7]
	ds_bpermute_b32 v13, v40, v2
	ds_bpermute_b32 v36, v40, v3
	;; [unrolled: 1-line block ×3, first 2 shown]
	v_pk_add_f32 v[4:5], v[8:9], v[4:5]
	ds_bpermute_b32 v16, v41, v4
	ds_bpermute_b32 v17, v41, v5
	v_cndmask_b32_e64 v29, -v29, v29, s[16:17]
	v_cndmask_b32_e64 v28, -v28, v28, s[16:17]
	;; [unrolled: 1-line block ×4, first 2 shown]
	ds_bpermute_b32 v10, v40, v1
	v_cndmask_b32_e64 v15, -v2, v2, s[6:7]
	v_cndmask_b32_e64 v38, -v3, v3, s[6:7]
	;; [unrolled: 1-line block ×3, first 2 shown]
	s_waitcnt lgkmcnt(7)
	v_pk_add_f32 v[30:31], v[32:33], v[30:31]
	v_pk_add_f32 v[28:29], v[28:29], v[34:35]
	ds_write_b128 v42, v[28:31] offset:12288
	s_waitcnt lgkmcnt(4)
	v_pk_add_f32 v[28:29], v[38:39], v[36:37]
	v_pk_add_f32 v[12:13], v[14:15], v[12:13]
	v_cndmask_b32_e64 v5, -v5, v5, s[8:9]
	v_cndmask_b32_e64 v4, -v4, v4, s[8:9]
	ds_bpermute_b32 v14, v41, v12
	ds_bpermute_b32 v15, v41, v13
	;; [unrolled: 1-line block ×4, first 2 shown]
	s_waitcnt lgkmcnt(6)
	v_pk_add_f32 v[4:5], v[4:5], v[16:17]
	v_cndmask_b32_e64 v18, -v1, v1, s[6:7]
	ds_bpermute_b32 v16, v43, v4
	ds_bpermute_b32 v17, v43, v5
	s_waitcnt lgkmcnt(7)
	v_pk_add_f32 v[8:9], v[18:19], v[10:11]
	ds_bpermute_b32 v10, v41, v8
	ds_bpermute_b32 v11, v41, v9
	v_cndmask_b32_e64 v13, -v13, v13, s[8:9]
	v_cndmask_b32_e64 v12, -v12, v12, s[8:9]
	v_cndmask_b32_e64 v29, -v29, v29, s[8:9]
	v_cndmask_b32_e64 v28, -v28, v28, s[8:9]
	s_waitcnt lgkmcnt(4)
	v_pk_add_f32 v[28:29], v[28:29], v[30:31]
	v_pk_add_f32 v[12:13], v[12:13], v[14:15]
	v_cndmask_b32_e64 v5, -v5, v5, s[10:11]
	v_cndmask_b32_e64 v4, -v4, v4, s[10:11]
	ds_bpermute_b32 v14, v43, v12
	ds_bpermute_b32 v15, v43, v13
	ds_bpermute_b32 v30, v43, v28
	ds_bpermute_b32 v31, v43, v29
	s_waitcnt lgkmcnt(6)
	v_pk_add_f32 v[4:5], v[4:5], v[16:17]
	v_cndmask_b32_e64 v9, -v9, v9, s[8:9]
	v_cndmask_b32_e64 v8, -v8, v8, s[8:9]
	ds_bpermute_b32 v16, v44, v4
	ds_bpermute_b32 v17, v44, v5
	s_waitcnt lgkmcnt(6)
	v_pk_add_f32 v[8:9], v[8:9], v[10:11]
	ds_bpermute_b32 v10, v43, v8
	ds_bpermute_b32 v11, v43, v9
	v_cndmask_b32_e64 v13, -v13, v13, s[10:11]
	v_cndmask_b32_e64 v12, -v12, v12, s[10:11]
	v_cndmask_b32_e64 v29, -v29, v29, s[10:11]
	v_cndmask_b32_e64 v28, -v28, v28, s[10:11]
	s_waitcnt lgkmcnt(4)
	v_pk_add_f32 v[28:29], v[28:29], v[30:31]
	v_pk_add_f32 v[12:13], v[12:13], v[14:15]
	v_cndmask_b32_e64 v5, -v5, v5, s[12:13]
	v_cndmask_b32_e64 v4, -v4, v4, s[12:13]
	ds_bpermute_b32 v14, v44, v12
	ds_bpermute_b32 v15, v44, v13
	ds_bpermute_b32 v30, v44, v28
	ds_bpermute_b32 v31, v44, v29
	s_waitcnt lgkmcnt(6)
	v_pk_add_f32 v[4:5], v[4:5], v[16:17]
	v_cndmask_b32_e64 v9, -v9, v9, s[10:11]
	;; [unrolled: 23-line block ×3, first 2 shown]
	v_cndmask_b32_e64 v8, -v8, v8, s[12:13]
	ds_bpermute_b32 v16, v46, v4
	ds_bpermute_b32 v17, v46, v5
	s_waitcnt lgkmcnt(6)
	v_pk_add_f32 v[8:9], v[8:9], v[10:11]
	ds_bpermute_b32 v10, v45, v8
	ds_bpermute_b32 v11, v45, v9
	v_cndmask_b32_e64 v13, -v13, v13, s[14:15]
	v_cndmask_b32_e64 v12, -v12, v12, s[14:15]
	;; [unrolled: 1-line block ×4, first 2 shown]
	s_waitcnt lgkmcnt(4)
	v_pk_add_f32 v[28:29], v[28:29], v[30:31]
	v_pk_add_f32 v[12:13], v[12:13], v[14:15]
	v_cndmask_b32_e64 v5, -v5, v5, s[16:17]
	v_cndmask_b32_e64 v4, -v4, v4, s[16:17]
	ds_bpermute_b32 v30, v46, v12
	ds_bpermute_b32 v31, v46, v13
	;; [unrolled: 1-line block ×4, first 2 shown]
	s_waitcnt lgkmcnt(6)
	v_pk_add_f32 v[4:5], v[4:5], v[16:17]
	ds_bpermute_b32 v16, v40, v47
	ds_bpermute_b32 v17, v40, v6
	;; [unrolled: 1-line block ×4, first 2 shown]
	v_cndmask_b32_e64 v9, -v9, v9, s[14:15]
	v_cndmask_b32_e64 v8, -v8, v8, s[14:15]
	s_waitcnt lgkmcnt(8)
	v_pk_add_f32 v[8:9], v[8:9], v[10:11]
	ds_bpermute_b32 v10, v46, v8
	ds_bpermute_b32 v11, v46, v9
	v_cndmask_b32_e64 v13, -v13, v13, s[16:17]
	v_cndmask_b32_e64 v12, -v12, v12, s[16:17]
	;; [unrolled: 1-line block ×8, first 2 shown]
	s_waitcnt lgkmcnt(6)
	v_pk_add_f32 v[14:15], v[28:29], v[14:15]
	v_pk_add_f32 v[12:13], v[12:13], v[30:31]
	ds_write_b128 v42, v[12:15] offset:16384
	s_waitcnt lgkmcnt(3)
	v_pk_add_f32 v[12:13], v[22:23], v[20:21]
	v_pk_add_f32 v[14:15], v[18:19], v[16:17]
	ds_bpermute_b32 v16, v41, v14
	ds_bpermute_b32 v17, v41, v15
	;; [unrolled: 1-line block ×4, first 2 shown]
	v_cndmask_b32_e64 v9, -v9, v9, s[16:17]
	v_cndmask_b32_e64 v8, -v8, v8, s[16:17]
	v_pk_add_f32 v[6:7], v[54:55], v[52:53]
	s_waitcnt lgkmcnt(5)
	v_pk_add_f32 v[2:3], v[8:9], v[10:11]
	v_pk_add_f32 v[8:9], v[26:27], v[24:25]
	ds_bpermute_b32 v24, v41, v6
	ds_bpermute_b32 v25, v41, v7
	v_cndmask_b32_e64 v15, -v15, v15, s[8:9]
	v_cndmask_b32_e64 v14, -v14, v14, s[8:9]
	v_cndmask_b32_e64 v13, -v13, v13, s[8:9]
	v_cndmask_b32_e64 v12, -v12, v12, s[8:9]
	s_waitcnt lgkmcnt(2)
	v_pk_add_f32 v[12:13], v[12:13], v[18:19]
	v_pk_add_f32 v[14:15], v[14:15], v[16:17]
	v_cndmask_b32_e64 v7, -v7, v7, s[8:9]
	v_cndmask_b32_e64 v6, -v6, v6, s[8:9]
	ds_bpermute_b32 v16, v43, v14
	ds_bpermute_b32 v17, v43, v15
	ds_bpermute_b32 v18, v43, v12
	ds_bpermute_b32 v19, v43, v13
	s_waitcnt lgkmcnt(4)
	v_pk_add_f32 v[6:7], v[6:7], v[24:25]
	ds_bpermute_b32 v24, v43, v6
	ds_bpermute_b32 v25, v43, v7
	v_cndmask_b32_e64 v15, -v15, v15, s[10:11]
	v_cndmask_b32_e64 v14, -v14, v14, s[10:11]
	v_cndmask_b32_e64 v13, -v13, v13, s[10:11]
	v_cndmask_b32_e64 v12, -v12, v12, s[10:11]
	s_waitcnt lgkmcnt(2)
	v_pk_add_f32 v[12:13], v[12:13], v[18:19]
	v_pk_add_f32 v[14:15], v[14:15], v[16:17]
	v_cndmask_b32_e64 v7, -v7, v7, s[10:11]
	v_cndmask_b32_e64 v6, -v6, v6, s[10:11]
	ds_bpermute_b32 v16, v44, v14
	ds_bpermute_b32 v17, v44, v15
	ds_bpermute_b32 v18, v44, v12
	ds_bpermute_b32 v19, v44, v13
	s_waitcnt lgkmcnt(4)
	;; [unrolled: 17-line block ×3, first 2 shown]
	v_pk_add_f32 v[6:7], v[6:7], v[24:25]
	ds_bpermute_b32 v24, v45, v6
	ds_bpermute_b32 v25, v45, v7
	v_cndmask_b32_e64 v15, -v15, v15, s[14:15]
	v_cndmask_b32_e64 v14, -v14, v14, s[14:15]
	v_cndmask_b32_e64 v13, -v13, v13, s[14:15]
	v_cndmask_b32_e64 v12, -v12, v12, s[14:15]
	s_waitcnt lgkmcnt(2)
	v_pk_add_f32 v[12:13], v[12:13], v[18:19]
	v_pk_add_f32 v[14:15], v[14:15], v[16:17]
	v_cndmask_b32_e64 v7, -v7, v7, s[14:15]
	v_cndmask_b32_e64 v6, -v6, v6, s[14:15]
	ds_bpermute_b32 v16, v46, v14
	ds_bpermute_b32 v17, v46, v15
	;; [unrolled: 1-line block ×4, first 2 shown]
	ds_write_b128 v42, v[2:5] offset:4096
	ds_bpermute_b32 v2, v40, v66
	ds_bpermute_b32 v3, v40, v63
	s_waitcnt lgkmcnt(7)
	v_pk_add_f32 v[6:7], v[6:7], v[24:25]
	ds_bpermute_b32 v24, v40, v68
	ds_bpermute_b32 v25, v40, v71
	;; [unrolled: 1-line block ×4, first 2 shown]
	v_cndmask_b32_e64 v21, -v15, v15, s[16:17]
	v_cndmask_b32_e64 v20, -v14, v14, s[16:17]
	;; [unrolled: 1-line block ×8, first 2 shown]
	s_waitcnt lgkmcnt(7)
	v_pk_add_f32 v[14:15], v[12:13], v[18:19]
	v_pk_add_f32 v[12:13], v[20:21], v[16:17]
	v_cndmask_b32_e64 v9, -v9, v9, s[8:9]
	v_cndmask_b32_e64 v8, -v8, v8, s[8:9]
	ds_write_b128 v42, v[12:15] offset:20480
	s_waitcnt lgkmcnt(3)
	v_pk_add_f32 v[12:13], v[26:27], v[24:25]
	v_pk_add_f32 v[2:3], v[4:5], v[2:3]
	s_waitcnt lgkmcnt(1)
	v_pk_add_f32 v[8:9], v[8:9], v[10:11]
	ds_bpermute_b32 v4, v41, v2
	ds_bpermute_b32 v5, v41, v3
	ds_bpermute_b32 v14, v41, v12
	ds_bpermute_b32 v15, v41, v13
	ds_bpermute_b32 v10, v43, v8
	ds_bpermute_b32 v11, v43, v9
	v_cndmask_b32_e64 v3, -v3, v3, s[8:9]
	v_cndmask_b32_e64 v2, -v2, v2, s[8:9]
	v_cndmask_b32_e64 v13, -v13, v13, s[8:9]
	v_cndmask_b32_e64 v12, -v12, v12, s[8:9]
	v_cndmask_b32_e64 v9, -v9, v9, s[10:11]
	v_cndmask_b32_e64 v8, -v8, v8, s[10:11]
	s_waitcnt lgkmcnt(2)
	v_pk_add_f32 v[12:13], v[12:13], v[14:15]
	v_pk_add_f32 v[2:3], v[2:3], v[4:5]
	s_waitcnt lgkmcnt(0)
	v_pk_add_f32 v[8:9], v[8:9], v[10:11]
	ds_bpermute_b32 v4, v43, v2
	ds_bpermute_b32 v5, v43, v3
	ds_bpermute_b32 v14, v43, v12
	ds_bpermute_b32 v15, v43, v13
	ds_bpermute_b32 v10, v44, v8
	ds_bpermute_b32 v11, v44, v9
	v_cndmask_b32_e64 v3, -v3, v3, s[10:11]
	v_cndmask_b32_e64 v2, -v2, v2, s[10:11]
	v_cndmask_b32_e64 v13, -v13, v13, s[10:11]
	v_cndmask_b32_e64 v12, -v12, v12, s[10:11]
	v_cndmask_b32_e64 v9, -v9, v9, s[12:13]
	v_cndmask_b32_e64 v8, -v8, v8, s[12:13]
	;; [unrolled: 17-line block ×3, first 2 shown]
	s_waitcnt lgkmcnt(2)
	v_pk_add_f32 v[12:13], v[12:13], v[14:15]
	v_pk_add_f32 v[2:3], v[2:3], v[4:5]
	s_waitcnt lgkmcnt(0)
	v_pk_add_f32 v[8:9], v[8:9], v[10:11]
	ds_bpermute_b32 v4, v45, v2
	ds_bpermute_b32 v5, v45, v3
	;; [unrolled: 1-line block ×8, first 2 shown]
	v_cndmask_b32_e64 v3, -v3, v3, s[14:15]
	v_cndmask_b32_e64 v2, -v2, v2, s[14:15]
	;; [unrolled: 1-line block ×8, first 2 shown]
	v_and_b32_e32 v1, 3, v0
	s_waitcnt lgkmcnt(4)
	v_pk_add_f32 v[12:13], v[12:13], v[14:15]
	v_pk_add_f32 v[2:3], v[2:3], v[4:5]
	s_waitcnt lgkmcnt(0)
	v_pk_add_f32 v[54:55], v[6:7], v[52:53]
	v_pk_add_f32 v[52:53], v[8:9], v[10:11]
	v_lshrrev_b32_e32 v0, 2, v0
	v_lshlrev_b32_e32 v10, 6, v1
	ds_bpermute_b32 v14, v46, v2
	ds_bpermute_b32 v15, v46, v3
	;; [unrolled: 1-line block ×6, first 2 shown]
	v_bitop3_b32 v47, v10, v1, v0 bitop3:0x36
	ds_bpermute_b32 v0, v40, v69
	ds_bpermute_b32 v1, v40, v72
	v_cndmask_b32_e64 v3, -v3, v3, s[16:17]
	v_cndmask_b32_e64 v2, -v2, v2, s[16:17]
	;; [unrolled: 1-line block ×8, first 2 shown]
	s_waitcnt lgkmcnt(4)
	v_pk_add_f32 v[4:5], v[12:13], v[4:5]
	v_pk_add_f32 v[2:3], v[2:3], v[14:15]
	ds_write_b128 v42, v[2:5] offset:24576
	s_waitcnt lgkmcnt(1)
	v_pk_add_f32 v[0:1], v[10:11], v[0:1]
	v_pk_add_f32 v[2:3], v[8:9], v[6:7]
	ds_bpermute_b32 v4, v41, v2
	ds_bpermute_b32 v5, v41, v3
	ds_bpermute_b32 v6, v41, v0
	ds_bpermute_b32 v7, v41, v1
	v_cndmask_b32_e64 v3, -v3, v3, s[8:9]
	v_cndmask_b32_e64 v2, -v2, v2, s[8:9]
	v_cndmask_b32_e64 v1, -v1, v1, s[8:9]
	v_cndmask_b32_e64 v0, -v0, v0, s[8:9]
	s_waitcnt lgkmcnt(0)
	v_pk_add_f32 v[0:1], v[0:1], v[6:7]
	v_pk_add_f32 v[2:3], v[2:3], v[4:5]
	ds_bpermute_b32 v4, v43, v2
	ds_bpermute_b32 v5, v43, v3
	ds_bpermute_b32 v6, v43, v0
	ds_bpermute_b32 v7, v43, v1
	v_cndmask_b32_e64 v3, -v3, v3, s[10:11]
	v_cndmask_b32_e64 v2, -v2, v2, s[10:11]
	v_cndmask_b32_e64 v1, -v1, v1, s[10:11]
	v_cndmask_b32_e64 v0, -v0, v0, s[10:11]
	;; [unrolled: 11-line block ×5, first 2 shown]
	s_waitcnt lgkmcnt(0)
	v_pk_add_f32 v[2:3], v[0:1], v[6:7]
	v_pk_add_f32 v[0:1], v[8:9], v[4:5]
	v_lshl_add_u32 v36, v47, 4, 0
	ds_write_b128 v42, v[52:55] offset:8192
	ds_write_b128 v42, v[0:3] offset:28672
	s_waitcnt lgkmcnt(0)
	s_barrier
	ds_read_b128 v[0:3], v36
	ds_read_b128 v[4:7], v36 offset:4096
	s_mul_i32 s0, s26, s3
	s_mul_hi_u32 s1, s26, s2
	s_add_i32 s0, s1, s0
	s_waitcnt lgkmcnt(1)
	ds_bpermute_b32 v8, v40, v0
	ds_bpermute_b32 v9, v40, v1
	ds_bpermute_b32 v10, v40, v2
	ds_bpermute_b32 v11, v40, v3
	v_cndmask_b32_e64 v1, -v1, v1, s[6:7]
	v_cndmask_b32_e64 v0, -v0, v0, s[6:7]
	v_cndmask_b32_e64 v3, -v3, v3, s[6:7]
	v_cndmask_b32_e64 v2, -v2, v2, s[6:7]
	s_waitcnt lgkmcnt(0)
	v_pk_add_f32 v[2:3], v[2:3], v[10:11]
	v_pk_add_f32 v[0:1], v[0:1], v[8:9]
	ds_bpermute_b32 v8, v41, v0
	ds_bpermute_b32 v9, v41, v1
	ds_bpermute_b32 v10, v41, v2
	ds_bpermute_b32 v11, v41, v3
	v_cndmask_b32_e64 v1, -v1, v1, s[8:9]
	v_cndmask_b32_e64 v0, -v0, v0, s[8:9]
	v_cndmask_b32_e64 v3, -v3, v3, s[8:9]
	v_cndmask_b32_e64 v2, -v2, v2, s[8:9]
	s_waitcnt lgkmcnt(0)
	v_pk_add_f32 v[2:3], v[2:3], v[10:11]
	v_pk_add_f32 v[0:1], v[0:1], v[8:9]
	;; [unrolled: 11-line block ×3, first 2 shown]
	ds_bpermute_b32 v12, v41, v4
	ds_bpermute_b32 v13, v41, v5
	ds_bpermute_b32 v14, v41, v6
	ds_bpermute_b32 v15, v41, v7
	ds_read_b128 v[8:11], v36 offset:8192
	v_cndmask_b32_e64 v5, -v5, v5, s[8:9]
	v_cndmask_b32_e64 v4, -v4, v4, s[8:9]
	;; [unrolled: 1-line block ×4, first 2 shown]
	s_waitcnt lgkmcnt(1)
	v_pk_add_f32 v[6:7], v[6:7], v[14:15]
	v_pk_add_f32 v[4:5], v[4:5], v[12:13]
	ds_read_b128 v[12:15], v36 offset:12288
	s_waitcnt lgkmcnt(1)
	ds_bpermute_b32 v16, v40, v8
	ds_bpermute_b32 v17, v40, v9
	ds_bpermute_b32 v18, v40, v10
	ds_bpermute_b32 v19, v40, v11
	v_cndmask_b32_e64 v9, -v9, v9, s[6:7]
	v_cndmask_b32_e64 v8, -v8, v8, s[6:7]
	v_cndmask_b32_e64 v11, -v11, v11, s[6:7]
	v_cndmask_b32_e64 v10, -v10, v10, s[6:7]
	s_waitcnt lgkmcnt(0)
	v_pk_add_f32 v[10:11], v[10:11], v[18:19]
	v_pk_add_f32 v[8:9], v[8:9], v[16:17]
	ds_bpermute_b32 v16, v41, v8
	ds_bpermute_b32 v17, v41, v9
	ds_bpermute_b32 v18, v41, v10
	ds_bpermute_b32 v19, v41, v11
	v_cndmask_b32_e64 v9, -v9, v9, s[8:9]
	v_cndmask_b32_e64 v8, -v8, v8, s[8:9]
	v_cndmask_b32_e64 v11, -v11, v11, s[8:9]
	v_cndmask_b32_e64 v10, -v10, v10, s[8:9]
	s_waitcnt lgkmcnt(0)
	v_pk_add_f32 v[10:11], v[10:11], v[18:19]
	v_pk_add_f32 v[8:9], v[8:9], v[16:17]
	;; [unrolled: 11-line block ×3, first 2 shown]
	ds_bpermute_b32 v16, v41, v12
	ds_bpermute_b32 v17, v41, v13
	;; [unrolled: 1-line block ×4, first 2 shown]
	v_cndmask_b32_e64 v23, -v13, v13, s[8:9]
	v_cndmask_b32_e64 v22, -v12, v12, s[8:9]
	ds_read_b128 v[12:15], v36 offset:16384
	v_cndmask_b32_e64 v19, -v19, v19, s[8:9]
	v_cndmask_b32_e64 v18, -v18, v18, s[8:9]
	s_waitcnt lgkmcnt(1)
	v_pk_add_f32 v[18:19], v[18:19], v[20:21]
	v_pk_add_f32 v[16:17], v[22:23], v[16:17]
	ds_read_b128 v[20:23], v36 offset:20480
	s_waitcnt lgkmcnt(1)
	ds_bpermute_b32 v24, v40, v12
	ds_bpermute_b32 v25, v40, v13
	ds_bpermute_b32 v26, v40, v14
	ds_bpermute_b32 v27, v40, v15
	v_cndmask_b32_e64 v13, -v13, v13, s[6:7]
	v_cndmask_b32_e64 v12, -v12, v12, s[6:7]
	v_cndmask_b32_e64 v15, -v15, v15, s[6:7]
	v_cndmask_b32_e64 v14, -v14, v14, s[6:7]
	s_waitcnt lgkmcnt(0)
	v_pk_add_f32 v[14:15], v[14:15], v[26:27]
	v_pk_add_f32 v[12:13], v[12:13], v[24:25]
	ds_bpermute_b32 v24, v41, v12
	ds_bpermute_b32 v25, v41, v13
	ds_bpermute_b32 v26, v41, v14
	ds_bpermute_b32 v27, v41, v15
	v_cndmask_b32_e64 v13, -v13, v13, s[8:9]
	v_cndmask_b32_e64 v12, -v12, v12, s[8:9]
	v_cndmask_b32_e64 v15, -v15, v15, s[8:9]
	v_cndmask_b32_e64 v14, -v14, v14, s[8:9]
	s_waitcnt lgkmcnt(0)
	v_pk_add_f32 v[14:15], v[14:15], v[26:27]
	v_pk_add_f32 v[12:13], v[12:13], v[24:25]
	;; [unrolled: 11-line block ×3, first 2 shown]
	ds_bpermute_b32 v24, v41, v20
	ds_bpermute_b32 v25, v41, v21
	;; [unrolled: 1-line block ×4, first 2 shown]
	v_cndmask_b32_e64 v31, -v21, v21, s[8:9]
	v_cndmask_b32_e64 v30, -v20, v20, s[8:9]
	ds_read_b128 v[20:23], v36 offset:24576
	v_cndmask_b32_e64 v27, -v27, v27, s[8:9]
	v_cndmask_b32_e64 v26, -v26, v26, s[8:9]
	s_waitcnt lgkmcnt(1)
	v_pk_add_f32 v[26:27], v[26:27], v[28:29]
	v_pk_add_f32 v[24:25], v[30:31], v[24:25]
	ds_read_b128 v[28:31], v36 offset:28672
	s_waitcnt lgkmcnt(1)
	ds_bpermute_b32 v32, v40, v20
	ds_bpermute_b32 v33, v40, v21
	ds_bpermute_b32 v34, v40, v22
	ds_bpermute_b32 v35, v40, v23
	v_cndmask_b32_e64 v21, -v21, v21, s[6:7]
	v_cndmask_b32_e64 v20, -v20, v20, s[6:7]
	v_cndmask_b32_e64 v23, -v23, v23, s[6:7]
	v_cndmask_b32_e64 v22, -v22, v22, s[6:7]
	s_waitcnt lgkmcnt(0)
	v_pk_add_f32 v[22:23], v[22:23], v[34:35]
	v_pk_add_f32 v[20:21], v[20:21], v[32:33]
	ds_bpermute_b32 v32, v41, v20
	ds_bpermute_b32 v33, v41, v21
	ds_bpermute_b32 v34, v41, v22
	ds_bpermute_b32 v35, v41, v23
	v_cndmask_b32_e64 v21, -v21, v21, s[8:9]
	v_cndmask_b32_e64 v20, -v20, v20, s[8:9]
	v_cndmask_b32_e64 v23, -v23, v23, s[8:9]
	v_cndmask_b32_e64 v22, -v22, v22, s[8:9]
	s_waitcnt lgkmcnt(0)
	v_pk_add_f32 v[22:23], v[22:23], v[34:35]
	v_pk_add_f32 v[20:21], v[20:21], v[32:33]
	;; [unrolled: 11-line block ×4, first 2 shown]
	s_barrier
	ds_write_b128 v36, v[0:3]
	ds_write_b128 v36, v[4:7] offset:4096
	ds_write_b128 v36, v[8:11] offset:8192
	;; [unrolled: 1-line block ×7, first 2 shown]
	s_waitcnt lgkmcnt(0)
	s_barrier
	ds_read_b128 v[8:11], v42
	ds_read_b128 v[12:15], v42 offset:8192
	ds_read_b128 v[0:3], v42 offset:16384
	;; [unrolled: 1-line block ×7, first 2 shown]
	s_mul_i32 s1, s27, s2
	s_add_i32 s1, s0, s1
	s_mul_i32 s0, s26, s2
	s_lshl_b64 s[0:1], s[0:1], 1
	s_add_u32 s0, s22, s0
	s_addc_u32 s1, s23, s1
	s_mov_b32 s25, s24
	s_waitcnt lgkmcnt(6)
	v_pk_add_f32 v[38:39], v[10:11], v[14:15]
	v_pk_add_f32 v[36:37], v[8:9], v[12:13]
	s_waitcnt lgkmcnt(4)
	v_pk_add_f32 v[46:47], v[2:3], v[6:7]
	v_pk_add_f32 v[42:43], v[0:1], v[4:5]
	;; [unrolled: 3-line block ×4, first 2 shown]
	s_and_saveexec_b64 s[2:3], s[20:21]
	s_cbranch_execz .LBB23_10
; %bb.9:
	v_pk_add_f32 v[52:53], v[38:39], v[46:47]
	v_pk_add_f32 v[54:55], v[36:37], v[42:43]
	s_mov_b32 s6, s24
	s_mov_b32 s7, s24
	v_pk_mul_f32 v[52:53], s[6:7], v[52:53]
	v_pk_mul_f32 v[54:55], s[24:25], v[54:55]
	v_cvt_pk_f16_f32 v53, v52, v53
	v_cvt_pk_f16_f32 v52, v54, v55
	v_pk_add_f32 v[54:55], v[34:35], v[44:45]
	v_pk_add_f32 v[56:57], v[32:33], v[40:41]
	v_pk_mul_f32 v[54:55], s[6:7], v[54:55]
	v_pk_mul_f32 v[56:57], s[24:25], v[56:57]
	v_cvt_pk_f16_f32 v55, v54, v55
	v_cvt_pk_f16_f32 v54, v56, v57
	global_store_dwordx4 v50, v[52:55], s[0:1]
.LBB23_10:
	s_or_b64 exec, exec, s[2:3]
	v_sub_f32_e32 v11, v11, v15
	v_sub_f32_e32 v10, v10, v14
	;; [unrolled: 1-line block ×16, first 2 shown]
	s_and_saveexec_b64 s[2:3], vcc
	s_cbranch_execnz .LBB23_14
; %bb.11:
	s_or_b64 exec, exec, s[2:3]
	s_and_saveexec_b64 s[2:3], s[18:19]
	s_cbranch_execnz .LBB23_15
.LBB23_12:
	s_or_b64 exec, exec, s[2:3]
	s_and_saveexec_b64 s[2:3], s[4:5]
	s_cbranch_execnz .LBB23_16
.LBB23_13:
	s_endpgm
.LBB23_14:
	v_pk_add_f32 v[16:17], v[10:11], v[12:13]
	v_pk_add_f32 v[18:19], v[8:9], v[14:15]
	s_mov_b32 s6, s24
	s_mov_b32 s7, s24
	v_pk_mul_f32 v[16:17], s[6:7], v[16:17]
	v_pk_mul_f32 v[18:19], s[24:25], v[18:19]
	v_cvt_pk_f16_f32 v17, v16, v17
	v_cvt_pk_f16_f32 v16, v18, v19
	v_pk_add_f32 v[18:19], v[0:1], v[4:5]
	v_pk_add_f32 v[20:21], v[2:3], v[6:7]
	v_pk_mul_f32 v[18:19], s[6:7], v[18:19]
	v_pk_mul_f32 v[20:21], s[24:25], v[20:21]
	v_cvt_pk_f16_f32 v19, v18, v19
	v_cvt_pk_f16_f32 v18, v20, v21
	global_store_dwordx4 v48, v[16:19], s[0:1]
	s_or_b64 exec, exec, s[2:3]
	s_and_saveexec_b64 s[2:3], s[18:19]
	s_cbranch_execz .LBB23_12
.LBB23_15:
	v_sub_f32_e32 v17, v39, v47
	v_sub_f32_e32 v16, v38, v46
	;; [unrolled: 1-line block ×4, first 2 shown]
	s_mov_b32 s6, s24
	s_mov_b32 s7, s24
	v_pk_mul_f32 v[18:19], s[24:25], v[18:19]
	v_pk_mul_f32 v[16:17], s[6:7], v[16:17]
	v_sub_f32_e32 v21, v33, v41
	v_cvt_pk_f16_f32 v17, v16, v17
	v_cvt_pk_f16_f32 v16, v18, v19
	v_sub_f32_e32 v19, v35, v45
	v_sub_f32_e32 v18, v34, v44
	;; [unrolled: 1-line block ×3, first 2 shown]
	v_pk_mul_f32 v[20:21], s[24:25], v[20:21]
	v_pk_mul_f32 v[18:19], s[6:7], v[18:19]
	s_nop 0
	v_cvt_pk_f16_f32 v19, v18, v19
	v_cvt_pk_f16_f32 v18, v20, v21
	global_store_dwordx4 v49, v[16:19], s[0:1]
	s_or_b64 exec, exec, s[2:3]
	s_and_saveexec_b64 s[2:3], s[4:5]
	s_cbranch_execz .LBB23_13
.LBB23_16:
	v_sub_f32_e32 v11, v11, v13
	v_sub_f32_e32 v10, v10, v12
	;; [unrolled: 1-line block ×4, first 2 shown]
	s_mov_b32 s2, s24
	s_mov_b32 s3, s24
	v_sub_f32_e32 v1, v1, v5
	v_sub_f32_e32 v0, v0, v4
	;; [unrolled: 1-line block ×4, first 2 shown]
	v_pk_mul_f32 v[12:13], s[24:25], v[8:9]
	v_pk_mul_f32 v[8:9], s[2:3], v[10:11]
	;; [unrolled: 1-line block ×4, first 2 shown]
	v_cvt_pk_f16_f32 v9, v8, v9
	v_cvt_pk_f16_f32 v8, v12, v13
	;; [unrolled: 1-line block ×4, first 2 shown]
	global_store_dwordx4 v51, v[8:11], s[0:1]
	s_endpgm
	.section	.rodata,"a",@progbits
	.p2align	6, 0x0
	.amdhsa_kernel _Z30fast_hadamard_transform_kernelI37fast_hadamard_transform_kernel_traitsILi256ELi13E6__halfEEv18HadamardParamsBase
		.amdhsa_group_segment_fixed_size 0
		.amdhsa_private_segment_fixed_size 0
		.amdhsa_kernarg_size 312
		.amdhsa_user_sgpr_count 2
		.amdhsa_user_sgpr_dispatch_ptr 0
		.amdhsa_user_sgpr_queue_ptr 0
		.amdhsa_user_sgpr_kernarg_segment_ptr 1
		.amdhsa_user_sgpr_dispatch_id 0
		.amdhsa_user_sgpr_kernarg_preload_length 0
		.amdhsa_user_sgpr_kernarg_preload_offset 0
		.amdhsa_user_sgpr_private_segment_size 0
		.amdhsa_uses_dynamic_stack 0
		.amdhsa_enable_private_segment 0
		.amdhsa_system_sgpr_workgroup_id_x 1
		.amdhsa_system_sgpr_workgroup_id_y 0
		.amdhsa_system_sgpr_workgroup_id_z 0
		.amdhsa_system_sgpr_workgroup_info 0
		.amdhsa_system_vgpr_workitem_id 0
		.amdhsa_next_free_vgpr 73
		.amdhsa_next_free_sgpr 28
		.amdhsa_accum_offset 76
		.amdhsa_reserve_vcc 1
		.amdhsa_float_round_mode_32 0
		.amdhsa_float_round_mode_16_64 0
		.amdhsa_float_denorm_mode_32 3
		.amdhsa_float_denorm_mode_16_64 3
		.amdhsa_dx10_clamp 1
		.amdhsa_ieee_mode 1
		.amdhsa_fp16_overflow 0
		.amdhsa_tg_split 0
		.amdhsa_exception_fp_ieee_invalid_op 0
		.amdhsa_exception_fp_denorm_src 0
		.amdhsa_exception_fp_ieee_div_zero 0
		.amdhsa_exception_fp_ieee_overflow 0
		.amdhsa_exception_fp_ieee_underflow 0
		.amdhsa_exception_fp_ieee_inexact 0
		.amdhsa_exception_int_div_zero 0
	.end_amdhsa_kernel
	.section	.text._Z30fast_hadamard_transform_kernelI37fast_hadamard_transform_kernel_traitsILi256ELi13E6__halfEEv18HadamardParamsBase,"axG",@progbits,_Z30fast_hadamard_transform_kernelI37fast_hadamard_transform_kernel_traitsILi256ELi13E6__halfEEv18HadamardParamsBase,comdat
.Lfunc_end23:
	.size	_Z30fast_hadamard_transform_kernelI37fast_hadamard_transform_kernel_traitsILi256ELi13E6__halfEEv18HadamardParamsBase, .Lfunc_end23-_Z30fast_hadamard_transform_kernelI37fast_hadamard_transform_kernel_traitsILi256ELi13E6__halfEEv18HadamardParamsBase
                                        ; -- End function
	.set _Z30fast_hadamard_transform_kernelI37fast_hadamard_transform_kernel_traitsILi256ELi13E6__halfEEv18HadamardParamsBase.num_vgpr, 73
	.set _Z30fast_hadamard_transform_kernelI37fast_hadamard_transform_kernel_traitsILi256ELi13E6__halfEEv18HadamardParamsBase.num_agpr, 0
	.set _Z30fast_hadamard_transform_kernelI37fast_hadamard_transform_kernel_traitsILi256ELi13E6__halfEEv18HadamardParamsBase.numbered_sgpr, 28
	.set _Z30fast_hadamard_transform_kernelI37fast_hadamard_transform_kernel_traitsILi256ELi13E6__halfEEv18HadamardParamsBase.num_named_barrier, 0
	.set _Z30fast_hadamard_transform_kernelI37fast_hadamard_transform_kernel_traitsILi256ELi13E6__halfEEv18HadamardParamsBase.private_seg_size, 0
	.set _Z30fast_hadamard_transform_kernelI37fast_hadamard_transform_kernel_traitsILi256ELi13E6__halfEEv18HadamardParamsBase.uses_vcc, 1
	.set _Z30fast_hadamard_transform_kernelI37fast_hadamard_transform_kernel_traitsILi256ELi13E6__halfEEv18HadamardParamsBase.uses_flat_scratch, 0
	.set _Z30fast_hadamard_transform_kernelI37fast_hadamard_transform_kernel_traitsILi256ELi13E6__halfEEv18HadamardParamsBase.has_dyn_sized_stack, 0
	.set _Z30fast_hadamard_transform_kernelI37fast_hadamard_transform_kernel_traitsILi256ELi13E6__halfEEv18HadamardParamsBase.has_recursion, 0
	.set _Z30fast_hadamard_transform_kernelI37fast_hadamard_transform_kernel_traitsILi256ELi13E6__halfEEv18HadamardParamsBase.has_indirect_call, 0
	.section	.AMDGPU.csdata,"",@progbits
; Kernel info:
; codeLenInByte = 7916
; TotalNumSgprs: 34
; NumVgprs: 73
; NumAgprs: 0
; TotalNumVgprs: 73
; ScratchSize: 0
; MemoryBound: 0
; FloatMode: 240
; IeeeMode: 1
; LDSByteSize: 0 bytes/workgroup (compile time only)
; SGPRBlocks: 4
; VGPRBlocks: 9
; NumSGPRsForWavesPerEU: 34
; NumVGPRsForWavesPerEU: 73
; AccumOffset: 76
; Occupancy: 6
; WaveLimiterHint : 0
; COMPUTE_PGM_RSRC2:SCRATCH_EN: 0
; COMPUTE_PGM_RSRC2:USER_SGPR: 2
; COMPUTE_PGM_RSRC2:TRAP_HANDLER: 0
; COMPUTE_PGM_RSRC2:TGID_X_EN: 1
; COMPUTE_PGM_RSRC2:TGID_Y_EN: 0
; COMPUTE_PGM_RSRC2:TGID_Z_EN: 0
; COMPUTE_PGM_RSRC2:TIDIG_COMP_CNT: 0
; COMPUTE_PGM_RSRC3_GFX90A:ACCUM_OFFSET: 18
; COMPUTE_PGM_RSRC3_GFX90A:TG_SPLIT: 0
	.section	.text._Z30fast_hadamard_transform_kernelI37fast_hadamard_transform_kernel_traitsILi256ELi14E6__halfEEv18HadamardParamsBase,"axG",@progbits,_Z30fast_hadamard_transform_kernelI37fast_hadamard_transform_kernel_traitsILi256ELi14E6__halfEEv18HadamardParamsBase,comdat
	.protected	_Z30fast_hadamard_transform_kernelI37fast_hadamard_transform_kernel_traitsILi256ELi14E6__halfEEv18HadamardParamsBase ; -- Begin function _Z30fast_hadamard_transform_kernelI37fast_hadamard_transform_kernel_traitsILi256ELi14E6__halfEEv18HadamardParamsBase
	.globl	_Z30fast_hadamard_transform_kernelI37fast_hadamard_transform_kernel_traitsILi256ELi14E6__halfEEv18HadamardParamsBase
	.p2align	8
	.type	_Z30fast_hadamard_transform_kernelI37fast_hadamard_transform_kernel_traitsILi256ELi14E6__halfEEv18HadamardParamsBase,@function
_Z30fast_hadamard_transform_kernelI37fast_hadamard_transform_kernel_traitsILi256ELi14E6__halfEEv18HadamardParamsBase: ; @_Z30fast_hadamard_transform_kernelI37fast_hadamard_transform_kernel_traitsILi256ELi14E6__halfEEv18HadamardParamsBase
; %bb.0:
	s_load_dwordx4 s[36:39], s[0:1], 0x10
	s_load_dword s16, s[0:1], 0x4
	s_load_dwordx4 s[28:31], s[0:1], 0x28
	s_ashr_i32 s3, s2, 31
	s_load_dword s6, s[0:1], 0x44
	s_waitcnt lgkmcnt(0)
	s_mul_hi_u32 s4, s36, s2
	s_mul_i32 s5, s36, s3
	s_add_i32 s4, s4, s5
	s_mul_i32 s5, s37, s2
	s_add_i32 s5, s4, s5
	s_mul_i32 s4, s36, s2
	s_lshl_b64 s[4:5], s[4:5], 1
	s_add_u32 s14, s28, s4
	v_lshlrev_b32_e32 v1, 3, v0
	s_addc_u32 s15, s29, s5
	v_cmp_gt_u32_e64 s[12:13], s16, v1
	v_mov_b32_e32 v1, 0
	v_lshlrev_b32_e32 v112, 4, v0
	v_mov_b32_e32 v8, 0
	v_mov_b32_e32 v9, 0
	;; [unrolled: 1-line block ×8, first 2 shown]
	s_and_saveexec_b64 s[4:5], s[12:13]
	s_cbranch_execz .LBB24_2
; %bb.1:
	global_load_dwordx4 v[2:5], v112, s[14:15]
	s_waitcnt vmcnt(0)
	v_cvt_f32_f16_e32 v8, v2
	v_cvt_f32_f16_e32 v9, v3
	v_cvt_f32_f16_sdwa v14, v2 dst_sel:DWORD dst_unused:UNUSED_PAD src0_sel:WORD_1
	v_cvt_f32_f16_sdwa v15, v3 dst_sel:DWORD dst_unused:UNUSED_PAD src0_sel:WORD_1
	v_cvt_f32_f16_e32 v10, v4
	v_cvt_f32_f16_e32 v11, v5
	v_cvt_f32_f16_sdwa v12, v4 dst_sel:DWORD dst_unused:UNUSED_PAD src0_sel:WORD_1
	v_cvt_f32_f16_sdwa v13, v5 dst_sel:DWORD dst_unused:UNUSED_PAD src0_sel:WORD_1
.LBB24_2:
	s_or_b64 exec, exec, s[4:5]
	s_and_b32 s17, 0xffff, s6
	v_add_u32_e32 v2, s17, v0
	v_lshlrev_b32_e32 v3, 3, v2
	v_cmp_gt_u32_e64 s[8:9], s16, v3
	v_lshlrev_b32_e32 v126, 4, v2
	v_mov_b32_e32 v47, 0
	v_mov_b32_e32 v46, 0
	;; [unrolled: 1-line block ×7, first 2 shown]
	s_and_saveexec_b64 s[4:5], s[8:9]
	s_cbranch_execz .LBB24_4
; %bb.3:
	global_load_dwordx4 v[4:7], v126, s[14:15]
	s_waitcnt vmcnt(0)
	v_cvt_f32_f16_e32 v50, v4
	v_cvt_f32_f16_sdwa v52, v4 dst_sel:DWORD dst_unused:UNUSED_PAD src0_sel:WORD_1
	v_cvt_f32_f16_e32 v48, v5
	v_cvt_f32_f16_sdwa v51, v5 dst_sel:DWORD dst_unused:UNUSED_PAD src0_sel:WORD_1
	;; [unrolled: 2-line block ×4, first 2 shown]
.LBB24_4:
	s_or_b64 exec, exec, s[4:5]
	v_add_u32_e32 v2, s17, v2
	v_lshlrev_b32_e32 v3, 3, v2
	v_cmp_gt_u32_e64 s[28:29], s16, v3
	v_mov_b32_e32 v53, 0
	v_lshlrev_b32_e32 v123, 4, v2
	v_mov_b32_e32 v54, 0
	v_mov_b32_e32 v56, 0
	;; [unrolled: 1-line block ×8, first 2 shown]
	s_and_saveexec_b64 s[4:5], s[28:29]
	s_cbranch_execz .LBB24_6
; %bb.5:
	global_load_dwordx4 v[4:7], v123, s[14:15]
	s_waitcnt vmcnt(0)
	v_cvt_f32_f16_e32 v59, v4
	v_cvt_f32_f16_sdwa v61, v4 dst_sel:DWORD dst_unused:UNUSED_PAD src0_sel:WORD_1
	v_cvt_f32_f16_e32 v57, v5
	v_cvt_f32_f16_sdwa v60, v5 dst_sel:DWORD dst_unused:UNUSED_PAD src0_sel:WORD_1
	;; [unrolled: 2-line block ×4, first 2 shown]
.LBB24_6:
	s_or_b64 exec, exec, s[4:5]
	v_add_u32_e32 v2, s17, v2
	v_lshlrev_b32_e32 v3, 3, v2
	v_cmp_gt_u32_e32 vcc, s16, v3
	v_lshlrev_b32_e32 v120, 4, v2
	v_mov_b32_e32 v63, 0
	v_mov_b32_e32 v62, 0
	v_mov_b32_e32 v65, 0
	v_mov_b32_e32 v64, 0
	v_mov_b32_e32 v71, 0
	v_mov_b32_e32 v68, 0
	v_mov_b32_e32 v74, 0
	s_and_saveexec_b64 s[4:5], vcc
	s_cbranch_execz .LBB24_8
; %bb.7:
	global_load_dwordx4 v[4:7], v120, s[14:15]
	s_waitcnt vmcnt(0)
	v_cvt_f32_f16_e32 v68, v4
	v_cvt_f32_f16_sdwa v74, v4 dst_sel:DWORD dst_unused:UNUSED_PAD src0_sel:WORD_1
	v_cvt_f32_f16_e32 v64, v5
	v_cvt_f32_f16_sdwa v71, v5 dst_sel:DWORD dst_unused:UNUSED_PAD src0_sel:WORD_1
	;; [unrolled: 2-line block ×4, first 2 shown]
.LBB24_8:
	s_or_b64 exec, exec, s[4:5]
	v_add_u32_e32 v2, s17, v2
	v_lshlrev_b32_e32 v3, 3, v2
	v_cmp_gt_u32_e64 s[26:27], s16, v3
	v_mov_b32_e32 v16, 0
	v_lshlrev_b32_e32 v121, 4, v2
	v_mov_b32_e32 v18, 0
	v_mov_b32_e32 v19, 0
	;; [unrolled: 1-line block ×8, first 2 shown]
	s_and_saveexec_b64 s[4:5], s[26:27]
	s_cbranch_execz .LBB24_10
; %bb.9:
	global_load_dwordx4 v[4:7], v121, s[14:15]
	s_waitcnt vmcnt(0)
	v_cvt_f32_f16_e32 v18, v4
	v_cvt_f32_f16_e32 v19, v5
	v_cvt_f32_f16_sdwa v20, v4 dst_sel:DWORD dst_unused:UNUSED_PAD src0_sel:WORD_1
	v_cvt_f32_f16_sdwa v21, v5 dst_sel:DWORD dst_unused:UNUSED_PAD src0_sel:WORD_1
	v_cvt_f32_f16_e32 v24, v6
	v_cvt_f32_f16_e32 v25, v7
	v_cvt_f32_f16_sdwa v26, v6 dst_sel:DWORD dst_unused:UNUSED_PAD src0_sel:WORD_1
	v_cvt_f32_f16_sdwa v27, v7 dst_sel:DWORD dst_unused:UNUSED_PAD src0_sel:WORD_1
.LBB24_10:
	s_or_b64 exec, exec, s[4:5]
	v_add_u32_e32 v2, s17, v2
	v_lshlrev_b32_e32 v3, 3, v2
	v_cmp_gt_u32_e64 s[4:5], s16, v3
	v_lshlrev_b32_e32 v122, 4, v2
	v_mov_b32_e32 v17, 0
	v_mov_b32_e32 v28, 0
	;; [unrolled: 1-line block ×7, first 2 shown]
	s_and_saveexec_b64 s[6:7], s[4:5]
	s_cbranch_execz .LBB24_12
; %bb.11:
	global_load_dwordx4 v[4:7], v122, s[14:15]
	s_waitcnt vmcnt(0)
	v_cvt_f32_f16_e32 v16, v4
	v_cvt_f32_f16_e32 v17, v5
	v_cvt_f32_f16_sdwa v28, v4 dst_sel:DWORD dst_unused:UNUSED_PAD src0_sel:WORD_1
	v_cvt_f32_f16_sdwa v29, v5 dst_sel:DWORD dst_unused:UNUSED_PAD src0_sel:WORD_1
	v_cvt_f32_f16_e32 v30, v6
	v_cvt_f32_f16_e32 v31, v7
	v_cvt_f32_f16_sdwa v32, v6 dst_sel:DWORD dst_unused:UNUSED_PAD src0_sel:WORD_1
	v_cvt_f32_f16_sdwa v33, v7 dst_sel:DWORD dst_unused:UNUSED_PAD src0_sel:WORD_1
.LBB24_12:
	s_or_b64 exec, exec, s[6:7]
	v_add_u32_e32 v2, s17, v2
	v_lshlrev_b32_e32 v3, 3, v2
	v_cmp_gt_u32_e64 s[6:7], s16, v3
	v_mov_b32_e32 v75, 0
	v_lshlrev_b32_e32 v124, 4, v2
	v_mov_b32_e32 v38, 0
	v_mov_b32_e32 v39, 0
	;; [unrolled: 1-line block ×8, first 2 shown]
	s_and_saveexec_b64 s[10:11], s[6:7]
	s_cbranch_execz .LBB24_14
; %bb.13:
	global_load_dwordx4 v[4:7], v124, s[14:15]
	s_waitcnt vmcnt(0)
	v_cvt_f32_f16_e32 v38, v4
	v_cvt_f32_f16_e32 v39, v5
	v_cvt_f32_f16_sdwa v40, v4 dst_sel:DWORD dst_unused:UNUSED_PAD src0_sel:WORD_1
	v_cvt_f32_f16_sdwa v41, v5 dst_sel:DWORD dst_unused:UNUSED_PAD src0_sel:WORD_1
	v_cvt_f32_f16_e32 v34, v6
	v_cvt_f32_f16_e32 v35, v7
	v_cvt_f32_f16_sdwa v36, v6 dst_sel:DWORD dst_unused:UNUSED_PAD src0_sel:WORD_1
	v_cvt_f32_f16_sdwa v37, v7 dst_sel:DWORD dst_unused:UNUSED_PAD src0_sel:WORD_1
.LBB24_14:
	s_or_b64 exec, exec, s[10:11]
	s_load_dword s34, s[0:1], 0x20
	v_add_u32_e32 v2, s17, v2
	v_lshlrev_b32_e32 v3, 3, v2
	v_cmp_gt_u32_e64 s[10:11], s16, v3
	v_lshlrev_b32_e32 v125, 4, v2
	v_mov_b32_e32 v77, 0
	v_mov_b32_e32 v76, 0
	;; [unrolled: 1-line block ×7, first 2 shown]
	s_and_saveexec_b64 s[0:1], s[10:11]
	s_cbranch_execz .LBB24_16
; %bb.15:
	global_load_dwordx4 v[2:5], v125, s[14:15]
	s_waitcnt vmcnt(0)
	v_cvt_f32_f16_e32 v42, v2
	v_cvt_f32_f16_sdwa v44, v2 dst_sel:DWORD dst_unused:UNUSED_PAD src0_sel:WORD_1
	v_cvt_f32_f16_e32 v43, v3
	v_cvt_f32_f16_sdwa v45, v3 dst_sel:DWORD dst_unused:UNUSED_PAD src0_sel:WORD_1
	;; [unrolled: 2-line block ×4, first 2 shown]
.LBB24_16:
	s_or_b64 exec, exec, s[0:1]
	v_pk_add_f32 v[66:67], v[8:9], v[14:15] neg_lo:[0,1] neg_hi:[0,1]
	v_pk_add_f32 v[6:7], v[18:19], v[20:21] neg_lo:[0,1] neg_hi:[0,1]
	;; [unrolled: 1-line block ×4, first 2 shown]
	v_pk_add_f32 v[72:73], v[14:15], v[8:9]
	v_pk_add_f32 v[22:23], v[20:21], v[18:19]
	;; [unrolled: 1-line block ×5, first 2 shown]
	v_pk_add_f32 v[8:9], v[42:43], v[44:45] neg_lo:[0,1] neg_hi:[0,1]
	v_pk_add_f32 v[40:41], v[12:13], v[10:11]
	v_pk_add_f32 v[42:43], v[10:11], v[12:13] neg_lo:[0,1] neg_hi:[0,1]
	v_pk_add_f32 v[28:29], v[26:27], v[24:25]
	;; [unrolled: 2-line block ×3, first 2 shown]
	v_pk_add_f32 v[12:13], v[30:31], v[32:33] neg_lo:[0,1] neg_hi:[0,1]
	v_mbcnt_lo_u32_b32 v32, -1, 0
	v_mbcnt_hi_u32_b32 v32, -1, v32
	v_and_b32_e32 v33, 64, v32
	v_pk_add_f32 v[24:25], v[36:37], v[34:35]
	v_pk_add_f32 v[10:11], v[34:35], v[36:37] neg_lo:[0,1] neg_hi:[0,1]
	v_add_u32_e32 v33, 64, v33
	v_xor_b32_e32 v37, 1, v32
	v_cmp_lt_i32_e64 s[0:1], v37, v33
	v_add_f32_e32 v30, v40, v41
	v_add_f32_e32 v31, v73, v72
	v_cndmask_b32_e64 v37, v32, v37, s[0:1]
	v_add_f32_e32 v34, v31, v30
	v_add_f32_e32 v38, v42, v43
	;; [unrolled: 1-line block ×3, first 2 shown]
	v_sub_f32_e32 v42, v42, v43
	v_sub_f32_e32 v43, v66, v67
	v_lshlrev_b32_e32 v66, 2, v37
	ds_bpermute_b32 v37, v66, v34
	v_and_b32_e32 v44, 1, v0
	v_sub_f32_e32 v30, v31, v30
	v_add_f32_e32 v31, v39, v38
	v_sub_f32_e32 v40, v40, v41
	v_sub_f32_e32 v41, v72, v73
	v_cmp_eq_u32_e64 s[14:15], 0, v44
	v_add_f32_e32 v35, v41, v40
	ds_bpermute_b32 v45, v66, v31
	v_cndmask_b32_e64 v34, -v34, v34, s[14:15]
	s_waitcnt lgkmcnt(0)
	v_add_f32_e32 v34, v34, v37
	ds_bpermute_b32 v37, v66, v35
	v_cndmask_b32_e64 v31, -v31, v31, s[14:15]
	v_add_f32_e32 v31, v31, v45
	v_cndmask_b32_e64 v35, -v35, v35, s[14:15]
	ds_bpermute_b32 v45, v66, v30
	v_add_f32_e32 v36, v43, v42
	s_waitcnt lgkmcnt(1)
	v_add_f32_e32 v35, v35, v37
	v_xor_b32_e32 v37, 2, v32
	ds_bpermute_b32 v44, v66, v36
	v_cmp_lt_i32_e64 s[0:1], v37, v33
	v_cndmask_b32_e64 v30, -v30, v30, s[14:15]
	s_waitcnt lgkmcnt(1)
	v_add_f32_e32 v30, v30, v45
	v_cndmask_b32_e64 v37, v32, v37, s[0:1]
	v_lshlrev_b32_e32 v67, 2, v37
	ds_bpermute_b32 v37, v67, v34
	ds_bpermute_b32 v45, v67, v31
	v_cndmask_b32_e64 v36, -v36, v36, s[14:15]
	s_waitcnt lgkmcnt(2)
	v_add_f32_e32 v36, v36, v44
	v_and_b32_e32 v44, 2, v0
	v_cmp_eq_u32_e64 s[16:17], 0, v44
	v_add_f32_e32 v85, v49, v46
	v_add_f32_e32 v86, v47, v1
	v_cndmask_b32_e64 v34, -v34, v34, s[16:17]
	v_cndmask_b32_e64 v31, -v31, v31, s[16:17]
	s_waitcnt lgkmcnt(1)
	v_add_f32_e32 v44, v34, v37
	ds_bpermute_b32 v34, v67, v35
	s_waitcnt lgkmcnt(1)
	v_add_f32_e32 v37, v31, v45
	ds_bpermute_b32 v45, v67, v30
	ds_bpermute_b32 v31, v67, v36
	v_cndmask_b32_e64 v35, -v35, v35, s[16:17]
	v_cndmask_b32_e64 v30, -v30, v30, s[16:17]
	s_waitcnt lgkmcnt(2)
	v_add_f32_e32 v34, v35, v34
	v_cndmask_b32_e64 v35, -v36, v36, s[16:17]
	s_waitcnt lgkmcnt(1)
	v_add_f32_e32 v36, v30, v45
	v_xor_b32_e32 v30, 4, v32
	v_cmp_lt_i32_e64 s[0:1], v30, v33
	s_waitcnt lgkmcnt(0)
	v_add_f32_e32 v35, v35, v31
	v_and_b32_e32 v45, 4, v0
	v_cndmask_b32_e64 v30, v32, v30, s[0:1]
	v_lshlrev_b32_e32 v69, 2, v30
	ds_bpermute_b32 v30, v69, v34
	ds_bpermute_b32 v31, v69, v35
	v_cmp_eq_u32_e64 s[18:19], 0, v45
	v_add_f32_e32 v80, v86, v85
	v_add_f32_e32 v89, v61, v59
	v_cndmask_b32_e64 v45, -v36, v36, s[18:19]
	ds_bpermute_b32 v36, v69, v36
	v_cndmask_b32_e64 v35, -v35, v35, s[18:19]
	v_cndmask_b32_e64 v34, -v34, v34, s[18:19]
	s_waitcnt lgkmcnt(1)
	v_pk_add_f32 v[30:31], v[34:35], v[30:31]
	ds_bpermute_b32 v34, v69, v44
	ds_bpermute_b32 v35, v69, v37
	s_waitcnt lgkmcnt(2)
	v_add_f32_e32 v72, v45, v36
	v_cndmask_b32_e64 v36, -v44, v44, s[18:19]
	v_xor_b32_e32 v44, 8, v32
	v_cmp_lt_i32_e64 s[0:1], v44, v33
	v_cndmask_b32_e64 v37, -v37, v37, s[18:19]
	s_waitcnt lgkmcnt(0)
	v_pk_add_f32 v[34:35], v[36:37], v[34:35]
	v_cndmask_b32_e64 v44, v32, v44, s[0:1]
	v_lshlrev_b32_e32 v70, 2, v44
	ds_bpermute_b32 v36, v70, v34
	ds_bpermute_b32 v37, v70, v35
	v_and_b32_e32 v45, 8, v0
	v_cmp_eq_u32_e64 s[20:21], 0, v45
	ds_bpermute_b32 v44, v70, v30
	ds_bpermute_b32 v45, v70, v31
	v_cndmask_b32_e64 v73, -v72, v72, s[20:21]
	ds_bpermute_b32 v72, v70, v72
	v_cndmask_b32_e64 v35, -v35, v35, s[20:21]
	v_cndmask_b32_e64 v34, -v34, v34, s[20:21]
	s_waitcnt lgkmcnt(3)
	v_pk_add_f32 v[34:35], v[34:35], v[36:37]
	v_xor_b32_e32 v36, 16, v32
	v_cmp_lt_i32_e64 s[0:1], v36, v33
	v_cndmask_b32_e64 v31, -v31, v31, s[20:21]
	v_cndmask_b32_e64 v30, -v30, v30, s[20:21]
	v_cndmask_b32_e64 v36, v32, v36, s[0:1]
	s_waitcnt lgkmcnt(1)
	v_pk_add_f32 v[30:31], v[30:31], v[44:45]
	s_waitcnt lgkmcnt(0)
	v_add_f32_e32 v73, v73, v72
	v_and_b32_e32 v44, 16, v0
	v_lshlrev_b32_e32 v72, 2, v36
	v_cmp_eq_u32_e64 s[22:23], 0, v44
	ds_bpermute_b32 v44, v72, v30
	ds_bpermute_b32 v45, v72, v31
	v_cndmask_b32_e64 v79, -v73, v73, s[22:23]
	ds_bpermute_b32 v73, v72, v73
	ds_bpermute_b32 v36, v72, v34
	;; [unrolled: 1-line block ×3, first 2 shown]
	v_cndmask_b32_e64 v31, -v31, v31, s[22:23]
	v_cndmask_b32_e64 v30, -v30, v30, s[22:23]
	s_waitcnt lgkmcnt(3)
	v_pk_add_f32 v[44:45], v[30:31], v[44:45]
	v_xor_b32_e32 v30, 32, v32
	v_cmp_lt_i32_e64 s[0:1], v30, v33
	s_waitcnt lgkmcnt(2)
	v_add_f32_e32 v84, v79, v73
	v_and_b32_e32 v79, 32, v0
	v_cndmask_b32_e64 v30, v32, v30, s[0:1]
	v_cndmask_b32_e64 v35, -v35, v35, s[22:23]
	v_cndmask_b32_e64 v34, -v34, v34, s[22:23]
	v_lshlrev_b32_e32 v73, 2, v30
	v_cmp_eq_u32_e64 s[24:25], 0, v79
	s_waitcnt lgkmcnt(0)
	v_pk_add_f32 v[32:33], v[34:35], v[36:37]
	ds_bpermute_b32 v34, v73, v44
	ds_bpermute_b32 v35, v73, v45
	v_cndmask_b32_e64 v37, -v45, v45, s[24:25]
	v_cndmask_b32_e64 v36, -v44, v44, s[24:25]
	v_add_f32_e32 v44, v52, v50
	v_add_f32_e32 v45, v51, v48
	v_add_f32_e32 v79, v45, v44
	v_add_f32_e32 v90, v60, v57
	v_add_f32_e32 v91, v58, v55
	v_add_f32_e32 v92, v56, v54
	v_add_f32_e32 v87, v80, v79
	v_sub_f32_e32 v88, v79, v80
	v_add_f32_e32 v79, v90, v89
	v_add_f32_e32 v80, v92, v91
	;; [unrolled: 1-line block ×7, first 2 shown]
	v_sub_f32_e32 v94, v79, v80
	v_add_f32_e32 v79, v96, v95
	v_add_f32_e32 v80, v98, v97
	v_add_f32_e32 v99, v80, v79
	v_sub_f32_e32 v100, v79, v80
	v_add_f32_e32 v79, v23, v22
	v_add_f32_e32 v80, v29, v28
	v_add_f32_e32 v101, v80, v79
	;; [unrolled: 4-line block ×4, first 2 shown]
	v_add_f32_e32 v105, v77, v75
	v_sub_f32_e32 v50, v50, v52
	v_sub_f32_e32 v51, v48, v51
	;; [unrolled: 1-line block ×4, first 2 shown]
	v_add_f32_e32 v82, v80, v79
	v_sub_f32_e32 v81, v79, v80
	v_add_f32_e32 v79, v19, v18
	v_add_f32_e32 v106, v105, v104
	v_sub_f32_e32 v39, v39, v38
	v_add_f32_e32 v1, v51, v50
	v_add_f32_e32 v38, v47, v46
	v_sub_f32_e32 v59, v59, v61
	v_sub_f32_e32 v57, v57, v60
	;; [unrolled: 1-line block ×4, first 2 shown]
	v_add_f32_e32 v80, v106, v79
	v_sub_f32_e32 v79, v79, v106
	v_add_f32_e32 v52, v38, v1
	v_sub_f32_e32 v106, v1, v38
	v_add_f32_e32 v1, v57, v59
	v_add_f32_e32 v38, v54, v55
	v_sub_f32_e32 v60, v68, v74
	v_sub_f32_e32 v61, v64, v71
	;; [unrolled: 1-line block ×4, first 2 shown]
	v_add_f32_e32 v56, v38, v1
	v_sub_f32_e32 v58, v1, v38
	v_add_f32_e32 v1, v61, v60
	v_add_f32_e32 v38, v53, v62
	v_add_f32_e32 v63, v38, v1
	v_sub_f32_e32 v64, v1, v38
	v_add_f32_e32 v1, v7, v6
	v_add_f32_e32 v38, v15, v14
	;; [unrolled: 4-line block ×4, first 2 shown]
	v_sub_f32_e32 v68, v76, v78
	v_sub_f32_e32 v74, v75, v77
	v_add_f32_e32 v38, v48, v1
	v_sub_f32_e32 v49, v1, v48
	v_add_f32_e32 v1, v9, v8
	v_add_f32_e32 v71, v74, v68
	v_sub_f32_e32 v40, v41, v40
	v_sub_f32_e32 v41, v44, v45
	;; [unrolled: 1-line block ×3, first 2 shown]
	v_add_f32_e32 v48, v71, v1
	v_sub_f32_e32 v1, v1, v71
	v_add_f32_e32 v45, v44, v41
	v_sub_f32_e32 v41, v41, v44
	v_sub_f32_e32 v44, v89, v90
	v_sub_f32_e32 v71, v91, v92
	v_sub_f32_e32 v16, v16, v17
	v_sub_f32_e32 v17, v24, v25
	v_add_f32_e32 v75, v71, v44
	v_sub_f32_e32 v44, v44, v71
	v_sub_f32_e32 v71, v95, v96
	v_sub_f32_e32 v76, v97, v98
	v_add_f32_e32 v25, v17, v16
	v_sub_f32_e32 v24, v16, v17
	v_sub_f32_e32 v17, v18, v19
	v_sub_f32_e32 v18, v104, v105
	;; [unrolled: 4-line block ×3, first 2 shown]
	v_sub_f32_e32 v20, v20, v21
	v_sub_f32_e32 v21, v26, v27
	v_add_f32_e32 v16, v18, v17
	v_sub_f32_e32 v71, v17, v18
	v_sub_f32_e32 v17, v50, v51
	;; [unrolled: 1-line block ×3, first 2 shown]
	v_add_f32_e32 v78, v23, v22
	v_sub_f32_e32 v22, v22, v23
	v_add_f32_e32 v23, v21, v20
	v_sub_f32_e32 v20, v20, v21
	;; [unrolled: 2-line block ×3, first 2 shown]
	v_sub_f32_e32 v17, v59, v57
	v_sub_f32_e32 v18, v55, v54
	v_add_f32_e32 v28, v18, v17
	v_sub_f32_e32 v29, v17, v18
	v_sub_f32_e32 v17, v60, v61
	;; [unrolled: 1-line block ×8, first 2 shown]
	v_add_f32_e32 v43, v18, v17
	v_sub_f32_e32 v46, v17, v18
	v_add_f32_e32 v53, v5, v4
	v_sub_f32_e32 v57, v4, v5
	;; [unrolled: 2-line block ×3, first 2 shown]
	v_sub_f32_e32 v2, v8, v9
	v_sub_f32_e32 v3, v68, v74
	ds_bpermute_b32 v4, v66, v39
	v_add_f32_e32 v17, v3, v2
	v_sub_f32_e32 v74, v2, v3
	ds_bpermute_b32 v2, v66, v40
	v_cndmask_b32_e64 v3, -v39, v39, s[14:15]
	s_waitcnt lgkmcnt(1)
	v_add_f32_e32 v8, v3, v4
	ds_bpermute_b32 v3, v66, v19
	v_cndmask_b32_e64 v4, -v40, v40, s[14:15]
	s_waitcnt lgkmcnt(1)
	v_add_f32_e32 v9, v4, v2
	;; [unrolled: 4-line block ×23, first 2 shown]
	v_cndmask_b32_e64 v3, -v100, v100, s[14:15]
	ds_bpermute_b32 v4, v66, v64
	s_waitcnt lgkmcnt(1)
	v_add_f32_e32 v28, v3, v2
	ds_bpermute_b32 v2, v66, v76
	ds_bpermute_b32 v30, v73, v32
	;; [unrolled: 1-line block ×4, first 2 shown]
	v_cndmask_b32_e64 v3, -v64, v64, s[14:15]
	s_waitcnt lgkmcnt(4)
	v_add_f32_e32 v41, v3, v4
	v_cndmask_b32_e64 v3, -v76, v76, s[14:15]
	v_cndmask_b32_e64 v33, -v33, v33, s[24:25]
	;; [unrolled: 1-line block ×3, first 2 shown]
	s_waitcnt lgkmcnt(3)
	v_add_f32_e32 v29, v3, v2
	v_cndmask_b32_e64 v2, -v46, v46, s[14:15]
	s_waitcnt lgkmcnt(0)
	v_add_f32_e32 v19, v2, v5
	v_pk_add_f32 v[4:5], v[32:33], v[30:31]
	v_lshrrev_b32_e32 v30, 6, v0
	v_sub_f32_e32 v6, v6, v7
	v_sub_f32_e32 v7, v14, v15
	v_xor_b32_e32 v30, v30, v0
	v_add_f32_e32 v14, v7, v6
	v_sub_f32_e32 v15, v6, v7
	v_pk_add_f32 v[6:7], v[36:37], v[34:35]
	v_lshl_add_u32 v68, v30, 4, 0
	ds_bpermute_b32 v11, v67, v8
	s_waitcnt lgkmcnt(0)
	s_barrier
	ds_write_b128 v68, v[4:7]
	ds_bpermute_b32 v4, v67, v9
	v_cndmask_b32_e64 v5, -v8, v8, s[16:17]
	v_cndmask_b32_e64 v7, -v9, v9, s[16:17]
	v_add_f32_e32 v5, v5, v11
	ds_bpermute_b32 v6, v69, v5
	s_waitcnt lgkmcnt(1)
	v_add_f32_e32 v4, v7, v4
	ds_bpermute_b32 v7, v69, v4
	v_cndmask_b32_e64 v5, -v5, v5, s[18:19]
	v_cndmask_b32_e64 v4, -v4, v4, s[18:19]
	s_waitcnt lgkmcnt(1)
	v_add_f32_e32 v5, v5, v6
	ds_bpermute_b32 v6, v70, v5
	s_waitcnt lgkmcnt(1)
	v_add_f32_e32 v4, v4, v7
	ds_bpermute_b32 v7, v70, v4
	v_cndmask_b32_e64 v5, -v5, v5, s[20:21]
	v_cndmask_b32_e64 v4, -v4, v4, s[20:21]
	s_waitcnt lgkmcnt(1)
	v_add_f32_e32 v5, v5, v6
	ds_bpermute_b32 v6, v72, v5
	s_waitcnt lgkmcnt(1)
	v_add_f32_e32 v4, v4, v7
	ds_bpermute_b32 v7, v72, v4
	ds_bpermute_b32 v9, v67, v10
	v_cndmask_b32_e64 v5, -v5, v5, s[22:23]
	v_cndmask_b32_e64 v4, -v4, v4, s[22:23]
	s_waitcnt lgkmcnt(2)
	v_add_f32_e32 v5, v5, v6
	s_waitcnt lgkmcnt(1)
	v_add_f32_e32 v4, v4, v7
	v_cndmask_b32_e64 v7, -v10, v10, s[16:17]
	ds_bpermute_b32 v6, v73, v5
	s_waitcnt lgkmcnt(1)
	v_add_f32_e32 v7, v7, v9
	ds_bpermute_b32 v10, v69, v7
	v_cndmask_b32_e64 v5, -v5, v5, s[24:25]
	ds_bpermute_b32 v3, v66, v65
	s_waitcnt lgkmcnt(2)
	v_add_f32_e32 v9, v5, v6
	v_cndmask_b32_e64 v6, -v7, v7, s[18:19]
	s_waitcnt lgkmcnt(1)
	v_add_f32_e32 v6, v6, v10
	ds_bpermute_b32 v7, v70, v6
	v_cndmask_b32_e64 v6, -v6, v6, s[20:21]
	ds_bpermute_b32 v5, v73, v4
	v_cndmask_b32_e64 v4, -v4, v4, s[24:25]
	v_cndmask_b32_e64 v51, -v65, v65, s[14:15]
	s_waitcnt lgkmcnt(1)
	v_add_f32_e32 v6, v6, v7
	ds_bpermute_b32 v7, v72, v6
	s_waitcnt lgkmcnt(1)
	v_add_f32_e32 v10, v4, v5
	v_cndmask_b32_e64 v5, -v6, v6, s[22:23]
	ds_bpermute_b32 v8, v73, v84
	ds_bpermute_b32 v55, v66, v14
	s_waitcnt lgkmcnt(2)
	v_add_f32_e32 v11, v5, v7
	v_cndmask_b32_e64 v65, -v14, v14, s[14:15]
	ds_bpermute_b32 v14, v73, v11
	v_cndmask_b32_e64 v42, -v84, v84, s[24:25]
	v_cndmask_b32_e64 v11, -v11, v11, s[24:25]
	s_waitcnt lgkmcnt(2)
	v_add_f32_e32 v8, v42, v8
	ds_bpermute_b32 v47, v66, v15
	s_waitcnt lgkmcnt(1)
	v_add_f32_e32 v11, v11, v14
	ds_bpermute_b32 v14, v67, v12
	ds_write_b128 v68, v[8:11] offset:4096
	ds_bpermute_b32 v8, v67, v13
	ds_bpermute_b32 v10, v67, v39
	v_cndmask_b32_e64 v9, -v12, v12, s[16:17]
	s_waitcnt lgkmcnt(3)
	v_add_f32_e32 v9, v9, v14
	v_cndmask_b32_e64 v11, -v13, v13, s[16:17]
	s_waitcnt lgkmcnt(1)
	v_add_f32_e32 v8, v11, v8
	ds_bpermute_b32 v11, v69, v9
	v_cndmask_b32_e64 v12, -v39, v39, s[16:17]
	s_waitcnt lgkmcnt(1)
	v_add_f32_e32 v10, v12, v10
	ds_bpermute_b32 v12, v69, v8
	;; [unrolled: 4-line block ×8, first 2 shown]
	v_cndmask_b32_e64 v9, -v9, v9, s[22:23]
	s_waitcnt lgkmcnt(1)
	v_add_f32_e32 v9, v9, v11
	v_cndmask_b32_e64 v8, -v8, v8, s[22:23]
	ds_bpermute_b32 v14, v67, v21
	s_waitcnt lgkmcnt(1)
	v_add_f32_e32 v8, v8, v12
	ds_bpermute_b32 v12, v73, v9
	ds_bpermute_b32 v11, v72, v10
	v_cndmask_b32_e64 v9, -v9, v9, s[24:25]
	v_cndmask_b32_e64 v10, -v10, v10, s[22:23]
	ds_bpermute_b32 v13, v73, v8
	s_waitcnt lgkmcnt(2)
	v_add_f32_e32 v12, v9, v12
	v_cndmask_b32_e64 v9, -v21, v21, s[16:17]
	v_add_f32_e32 v9, v9, v14
	s_waitcnt lgkmcnt(1)
	v_add_f32_e32 v10, v10, v11
	ds_bpermute_b32 v11, v69, v9
	v_cndmask_b32_e64 v9, -v9, v9, s[18:19]
	v_cndmask_b32_e64 v8, -v8, v8, s[24:25]
	;; [unrolled: 1-line block ×3, first 2 shown]
	s_waitcnt lgkmcnt(1)
	v_add_f32_e32 v13, v8, v13
	s_waitcnt lgkmcnt(0)
	v_add_f32_e32 v9, v9, v11
	ds_bpermute_b32 v11, v70, v9
	v_cndmask_b32_e64 v9, -v9, v9, s[20:21]
	ds_bpermute_b32 v8, v73, v10
	v_cndmask_b32_e64 v10, -v10, v10, s[24:25]
	ds_bpermute_b32 v31, v67, v59
	s_waitcnt lgkmcnt(2)
	v_add_f32_e32 v9, v9, v11
	ds_bpermute_b32 v11, v72, v9
	v_cndmask_b32_e64 v9, -v9, v9, s[22:23]
	s_waitcnt lgkmcnt(2)
	v_add_f32_e32 v14, v10, v8
	ds_bpermute_b32 v46, v66, v22
	v_cndmask_b32_e64 v62, -v22, v22, s[14:15]
	;; [unrolled: 4-line block ×3, first 2 shown]
	ds_bpermute_b32 v44, v66, v23
	v_cndmask_b32_e64 v60, -v23, v23, s[14:15]
	v_cndmask_b32_e64 v23, -v85, v85, s[16:17]
	s_waitcnt lgkmcnt(1)
	v_add_f32_e32 v15, v15, v21
	ds_bpermute_b32 v21, v67, v40
	ds_write_b128 v68, v[12:15] offset:8192
	ds_bpermute_b32 v12, v67, v45
	ds_bpermute_b32 v14, v67, v52
	v_cndmask_b32_e64 v13, -v40, v40, s[16:17]
	s_waitcnt lgkmcnt(3)
	v_add_f32_e32 v13, v13, v21
	v_cndmask_b32_e64 v15, -v45, v45, s[16:17]
	s_waitcnt lgkmcnt(1)
	v_add_f32_e32 v12, v15, v12
	ds_bpermute_b32 v15, v69, v13
	v_cndmask_b32_e64 v21, -v52, v52, s[16:17]
	s_waitcnt lgkmcnt(1)
	v_add_f32_e32 v14, v21, v14
	ds_bpermute_b32 v21, v69, v12
	;; [unrolled: 4-line block ×8, first 2 shown]
	v_cndmask_b32_e64 v13, -v13, v13, s[22:23]
	s_waitcnt lgkmcnt(1)
	v_add_f32_e32 v13, v13, v15
	v_cndmask_b32_e64 v12, -v12, v12, s[22:23]
	ds_bpermute_b32 v15, v72, v14
	s_waitcnt lgkmcnt(1)
	v_add_f32_e32 v12, v12, v21
	ds_bpermute_b32 v21, v73, v13
	v_cndmask_b32_e64 v13, -v13, v13, s[24:25]
	v_cndmask_b32_e64 v14, -v14, v14, s[22:23]
	s_waitcnt lgkmcnt(1)
	v_add_f32_e32 v14, v14, v15
	ds_bpermute_b32 v22, v73, v12
	s_waitcnt lgkmcnt(1)
	v_add_f32_e32 v30, v13, v21
	v_cndmask_b32_e64 v13, -v59, v59, s[16:17]
	v_add_f32_e32 v13, v13, v31
	ds_bpermute_b32 v15, v69, v13
	v_cndmask_b32_e64 v13, -v13, v13, s[18:19]
	v_cndmask_b32_e64 v12, -v12, v12, s[24:25]
	s_waitcnt lgkmcnt(1)
	v_add_f32_e32 v31, v12, v22
	ds_bpermute_b32 v12, v73, v14
	s_waitcnt lgkmcnt(1)
	v_add_f32_e32 v13, v13, v15
	ds_bpermute_b32 v15, v70, v13
	v_cndmask_b32_e64 v13, -v13, v13, s[20:21]
	v_cndmask_b32_e64 v14, -v14, v14, s[24:25]
	s_waitcnt lgkmcnt(1)
	v_add_f32_e32 v32, v14, v12
	ds_bpermute_b32 v42, v66, v20
	s_waitcnt lgkmcnt(1)
	v_add_f32_e32 v13, v13, v15
	ds_bpermute_b32 v15, v72, v13
	v_cndmask_b32_e64 v13, -v13, v13, s[22:23]
	v_cndmask_b32_e64 v58, -v20, v20, s[14:15]
	ds_bpermute_b32 v36, v67, v90
	ds_bpermute_b32 v43, v66, v57
	s_waitcnt lgkmcnt(2)
	v_add_f32_e32 v21, v13, v15
	ds_bpermute_b32 v22, v73, v21
	v_cndmask_b32_e64 v21, -v21, v21, s[24:25]
	v_cndmask_b32_e64 v59, -v57, v57, s[14:15]
	ds_bpermute_b32 v39, v66, v26
	v_cndmask_b32_e64 v57, -v26, v26, s[14:15]
	s_waitcnt lgkmcnt(1)
	v_add_f32_e32 v33, v21, v22
	ds_bpermute_b32 v21, v67, v85
	ds_bpermute_b32 v22, v67, v56
	ds_write_b128 v68, v[30:33] offset:12288
	v_cndmask_b32_e64 v30, -v56, v56, s[16:17]
	v_cndmask_b32_e64 v31, -v75, v75, s[16:17]
	s_waitcnt lgkmcnt(2)
	v_add_f32_e32 v21, v23, v21
	ds_bpermute_b32 v23, v67, v75
	s_waitcnt lgkmcnt(2)
	v_add_f32_e32 v22, v30, v22
	ds_bpermute_b32 v30, v69, v21
	v_cndmask_b32_e64 v21, -v21, v21, s[18:19]
	ds_bpermute_b32 v33, v67, v86
	s_waitcnt lgkmcnt(2)
	v_add_f32_e32 v23, v31, v23
	ds_bpermute_b32 v31, v69, v22
	s_waitcnt lgkmcnt(2)
	v_add_f32_e32 v21, v21, v30
	ds_bpermute_b32 v30, v69, v23
	v_cndmask_b32_e64 v22, -v22, v22, s[18:19]
	v_cndmask_b32_e64 v23, -v23, v23, s[18:19]
	s_waitcnt lgkmcnt(1)
	v_add_f32_e32 v22, v22, v31
	ds_bpermute_b32 v31, v70, v21
	s_waitcnt lgkmcnt(1)
	v_add_f32_e32 v23, v23, v30
	ds_bpermute_b32 v30, v70, v22
	v_cndmask_b32_e64 v21, -v21, v21, s[20:21]
	v_cndmask_b32_e64 v22, -v22, v22, s[20:21]
	;; [unrolled: 8-line block ×3, first 2 shown]
	s_waitcnt lgkmcnt(1)
	v_add_f32_e32 v23, v23, v31
	ds_bpermute_b32 v31, v72, v22
	s_waitcnt lgkmcnt(1)
	v_add_f32_e32 v21, v21, v30
	v_cndmask_b32_e64 v22, -v22, v22, s[22:23]
	ds_bpermute_b32 v30, v72, v23
	v_cndmask_b32_e64 v23, -v23, v23, s[22:23]
	s_waitcnt lgkmcnt(1)
	v_add_f32_e32 v22, v22, v31
	ds_bpermute_b32 v31, v73, v21
	v_cndmask_b32_e64 v21, -v21, v21, s[24:25]
	s_waitcnt lgkmcnt(1)
	v_add_f32_e32 v23, v23, v30
	;; [unrolled: 4-line block ×3, first 2 shown]
	v_cndmask_b32_e64 v21, -v86, v86, s[16:17]
	v_add_f32_e32 v21, v21, v33
	ds_bpermute_b32 v33, v69, v21
	v_cndmask_b32_e64 v21, -v21, v21, s[18:19]
	s_waitcnt lgkmcnt(1)
	v_add_f32_e32 v31, v22, v32
	ds_bpermute_b32 v22, v73, v23
	v_cndmask_b32_e64 v56, -v25, v25, s[14:15]
	s_waitcnt lgkmcnt(1)
	v_add_f32_e32 v21, v21, v33
	ds_bpermute_b32 v32, v70, v21
	v_cndmask_b32_e64 v20, -v21, v21, s[20:21]
	ds_bpermute_b32 v12, v66, v83
	v_cndmask_b32_e64 v14, -v83, v83, s[14:15]
	v_cndmask_b32_e64 v37, -v77, v77, s[16:17]
	s_waitcnt lgkmcnt(1)
	v_add_f32_e32 v21, v20, v32
	ds_bpermute_b32 v33, v72, v21
	v_cndmask_b32_e64 v21, -v21, v21, s[22:23]
	v_cndmask_b32_e64 v20, -v23, v23, s[24:25]
	v_add_f32_e32 v32, v20, v22
	ds_bpermute_b32 v20, v66, v82
	s_waitcnt lgkmcnt(1)
	v_add_f32_e32 v33, v21, v33
	ds_bpermute_b32 v34, v73, v33
	v_cndmask_b32_e64 v33, -v33, v33, s[24:25]
	v_cndmask_b32_e64 v22, -v82, v82, s[14:15]
	ds_bpermute_b32 v21, v66, v38
	v_cndmask_b32_e64 v23, -v38, v38, s[14:15]
	s_waitcnt lgkmcnt(1)
	v_add_f32_e32 v33, v33, v34
	ds_bpermute_b32 v34, v67, v87
	ds_write_b128 v68, v[30:33] offset:16384
	ds_bpermute_b32 v30, v67, v88
	ds_bpermute_b32 v32, v67, v89
	v_cndmask_b32_e64 v31, -v87, v87, s[16:17]
	s_waitcnt lgkmcnt(3)
	v_add_f32_e32 v31, v31, v34
	v_cndmask_b32_e64 v33, -v88, v88, s[16:17]
	s_waitcnt lgkmcnt(1)
	v_add_f32_e32 v30, v33, v30
	ds_bpermute_b32 v33, v69, v31
	v_cndmask_b32_e64 v34, -v89, v89, s[16:17]
	s_waitcnt lgkmcnt(1)
	v_add_f32_e32 v32, v34, v32
	ds_bpermute_b32 v34, v69, v30
	;; [unrolled: 4-line block ×8, first 2 shown]
	v_cndmask_b32_e64 v31, -v31, v31, s[22:23]
	s_waitcnt lgkmcnt(1)
	v_add_f32_e32 v31, v31, v33
	v_cndmask_b32_e64 v30, -v30, v30, s[22:23]
	ds_bpermute_b32 v33, v72, v32
	s_waitcnt lgkmcnt(1)
	v_add_f32_e32 v30, v30, v34
	ds_bpermute_b32 v34, v73, v31
	v_cndmask_b32_e64 v31, -v31, v31, s[24:25]
	v_cndmask_b32_e64 v32, -v32, v32, s[22:23]
	s_waitcnt lgkmcnt(1)
	v_add_f32_e32 v32, v32, v33
	ds_bpermute_b32 v38, v66, v25
	s_waitcnt lgkmcnt(1)
	v_add_f32_e32 v82, v31, v34
	v_cndmask_b32_e64 v31, -v90, v90, s[16:17]
	v_add_f32_e32 v31, v31, v36
	ds_bpermute_b32 v33, v69, v31
	v_cndmask_b32_e64 v31, -v31, v31, s[18:19]
	ds_bpermute_b32 v35, v73, v30
	v_cndmask_b32_e64 v30, -v30, v30, s[24:25]
	ds_bpermute_b32 v45, v66, v53
	s_waitcnt lgkmcnt(2)
	v_add_f32_e32 v31, v31, v33
	ds_bpermute_b32 v33, v70, v31
	v_cndmask_b32_e64 v25, -v31, v31, s[20:21]
	s_waitcnt lgkmcnt(2)
	v_add_f32_e32 v83, v30, v35
	ds_bpermute_b32 v30, v73, v32
	v_cndmask_b32_e64 v31, -v32, v32, s[24:25]
	;; [unrolled: 4-line block ×3, first 2 shown]
	s_waitcnt lgkmcnt(1)
	v_add_f32_e32 v84, v31, v30
	v_cndmask_b32_e64 v30, -v91, v91, s[16:17]
	v_cndmask_b32_e64 v31, -v92, v92, s[16:17]
	s_waitcnt lgkmcnt(0)
	v_add_f32_e32 v25, v25, v26
	ds_bpermute_b32 v26, v73, v25
	v_cndmask_b32_e64 v25, -v25, v25, s[24:25]
	ds_bpermute_b32 v33, v66, v49
	v_cndmask_b32_e64 v35, -v49, v49, s[14:15]
	ds_bpermute_b32 v49, v67, v27
	s_waitcnt lgkmcnt(2)
	v_add_f32_e32 v85, v25, v26
	ds_bpermute_b32 v25, v67, v91
	ds_bpermute_b32 v26, v67, v92
	ds_write_b128 v68, v[82:85] offset:20480
	v_cndmask_b32_e64 v61, -v53, v53, s[14:15]
	v_cndmask_b32_e64 v53, -v18, v18, s[14:15]
	s_waitcnt lgkmcnt(2)
	v_add_f32_e32 v25, v30, v25
	ds_bpermute_b32 v30, v67, v77
	s_waitcnt lgkmcnt(2)
	v_add_f32_e32 v26, v31, v26
	ds_bpermute_b32 v31, v69, v25
	v_cndmask_b32_e64 v25, -v25, v25, s[18:19]
	ds_bpermute_b32 v36, v66, v24
	s_waitcnt lgkmcnt(2)
	v_add_f32_e32 v30, v37, v30
	ds_bpermute_b32 v37, v69, v26
	s_waitcnt lgkmcnt(2)
	v_add_f32_e32 v25, v25, v31
	ds_bpermute_b32 v31, v69, v30
	v_cndmask_b32_e64 v26, -v26, v26, s[18:19]
	v_cndmask_b32_e64 v30, -v30, v30, s[18:19]
	s_waitcnt lgkmcnt(1)
	v_add_f32_e32 v26, v26, v37
	ds_bpermute_b32 v37, v70, v25
	s_waitcnt lgkmcnt(1)
	v_add_f32_e32 v30, v30, v31
	ds_bpermute_b32 v31, v70, v26
	v_cndmask_b32_e64 v25, -v25, v25, s[20:21]
	v_cndmask_b32_e64 v26, -v26, v26, s[20:21]
	;; [unrolled: 8-line block ×3, first 2 shown]
	s_waitcnt lgkmcnt(1)
	v_add_f32_e32 v30, v30, v37
	ds_bpermute_b32 v37, v72, v26
	s_waitcnt lgkmcnt(1)
	v_add_f32_e32 v25, v25, v31
	v_cndmask_b32_e64 v26, -v26, v26, s[22:23]
	ds_bpermute_b32 v31, v72, v30
	v_cndmask_b32_e64 v30, -v30, v30, s[22:23]
	s_waitcnt lgkmcnt(1)
	v_add_f32_e32 v26, v26, v37
	ds_bpermute_b32 v37, v73, v25
	v_cndmask_b32_e64 v25, -v25, v25, s[24:25]
	ds_bpermute_b32 v40, v73, v26
	s_waitcnt lgkmcnt(2)
	v_add_f32_e32 v30, v30, v31
	v_cndmask_b32_e64 v26, -v26, v26, s[24:25]
	s_waitcnt lgkmcnt(1)
	v_add_f32_e32 v82, v25, v37
	v_cndmask_b32_e64 v25, -v27, v27, s[16:17]
	v_add_f32_e32 v25, v25, v49
	ds_bpermute_b32 v27, v69, v25
	v_cndmask_b32_e64 v25, -v25, v25, s[18:19]
	ds_bpermute_b32 v37, v66, v18
	s_waitcnt lgkmcnt(2)
	v_add_f32_e32 v83, v26, v40
	ds_bpermute_b32 v26, v73, v30
	s_waitcnt lgkmcnt(2)
	v_add_f32_e32 v25, v25, v27
	ds_bpermute_b32 v27, v70, v25
	v_cndmask_b32_e64 v18, -v25, v25, s[20:21]
	v_cndmask_b32_e64 v52, -v24, v24, s[14:15]
	;; [unrolled: 1-line block ×4, first 2 shown]
	s_waitcnt lgkmcnt(0)
	v_add_f32_e32 v18, v18, v27
	ds_bpermute_b32 v25, v72, v18
	v_cndmask_b32_e64 v18, -v18, v18, s[22:23]
	v_cndmask_b32_e64 v27, -v48, v48, s[14:15]
	ds_bpermute_b32 v40, v66, v16
	v_cndmask_b32_e64 v49, -v17, v17, s[14:15]
	s_waitcnt lgkmcnt(1)
	v_add_f32_e32 v18, v18, v25
	ds_bpermute_b32 v30, v73, v18
	v_cndmask_b32_e64 v18, -v18, v18, s[24:25]
	ds_bpermute_b32 v25, v66, v48
	ds_bpermute_b32 v48, v67, v19
	;; [unrolled: 1-line block ×3, first 2 shown]
	s_waitcnt lgkmcnt(3)
	v_add_f32_e32 v85, v18, v30
	ds_bpermute_b32 v18, v67, v28
	ds_bpermute_b32 v30, v67, v41
	v_cndmask_b32_e64 v28, -v28, v28, s[16:17]
	v_cndmask_b32_e64 v64, -v78, v78, s[14:15]
	ds_bpermute_b32 v2, v66, v101
	s_waitcnt lgkmcnt(2)
	v_add_f32_e32 v18, v28, v18
	ds_bpermute_b32 v28, v67, v29
	s_waitcnt lgkmcnt(2)
	v_add_f32_e32 v30, v31, v30
	ds_bpermute_b32 v31, v69, v18
	v_cndmask_b32_e64 v29, -v29, v29, s[16:17]
	v_cndmask_b32_e64 v18, -v18, v18, s[18:19]
	s_waitcnt lgkmcnt(1)
	v_add_f32_e32 v28, v29, v28
	ds_bpermute_b32 v29, v69, v30
	s_waitcnt lgkmcnt(1)
	v_add_f32_e32 v18, v18, v31
	ds_bpermute_b32 v31, v69, v28
	v_cndmask_b32_e64 v30, -v30, v30, s[18:19]
	v_cndmask_b32_e64 v28, -v28, v28, s[18:19]
	;; [unrolled: 8-line block ×4, first 2 shown]
	s_waitcnt lgkmcnt(1)
	v_add_f32_e32 v28, v28, v30
	ds_bpermute_b32 v30, v72, v29
	s_waitcnt lgkmcnt(1)
	v_add_f32_e32 v18, v18, v31
	v_cndmask_b32_e64 v29, -v29, v29, s[22:23]
	ds_bpermute_b32 v31, v72, v28
	v_cndmask_b32_e64 v28, -v28, v28, s[22:23]
	s_waitcnt lgkmcnt(1)
	v_add_f32_e32 v29, v29, v30
	ds_bpermute_b32 v30, v73, v18
	v_cndmask_b32_e64 v18, -v18, v18, s[24:25]
	ds_bpermute_b32 v41, v73, v29
	v_cndmask_b32_e64 v29, -v29, v29, s[24:25]
	s_waitcnt lgkmcnt(2)
	v_add_f32_e32 v28, v28, v31
	s_waitcnt lgkmcnt(1)
	v_add_f32_e32 v76, v18, v30
	v_cndmask_b32_e64 v18, -v19, v19, s[16:17]
	v_add_f32_e32 v18, v18, v48
	ds_bpermute_b32 v19, v69, v18
	v_cndmask_b32_e64 v18, -v18, v18, s[18:19]
	v_cndmask_b32_e64 v48, -v16, v16, s[14:15]
	s_waitcnt lgkmcnt(1)
	v_add_f32_e32 v77, v29, v41
	ds_bpermute_b32 v41, v66, v17
	s_waitcnt lgkmcnt(1)
	v_add_f32_e32 v18, v18, v19
	ds_bpermute_b32 v19, v70, v18
	v_cndmask_b32_e64 v16, -v18, v18, s[20:21]
	ds_bpermute_b32 v29, v73, v28
	v_cndmask_b32_e64 v50, -v101, v101, s[14:15]
	v_cndmask_b32_e64 v30, -v71, v71, s[14:15]
	s_waitcnt lgkmcnt(1)
	v_add_f32_e32 v17, v16, v19
	ds_bpermute_b32 v18, v72, v17
	v_cndmask_b32_e64 v17, -v17, v17, s[22:23]
	v_cndmask_b32_e64 v16, -v28, v28, s[24:25]
	s_waitcnt lgkmcnt(1)
	v_add_f32_e32 v78, v16, v29
	v_cndmask_b32_e64 v19, -v1, v1, s[14:15]
	s_waitcnt lgkmcnt(0)
	v_add_f32_e32 v28, v17, v18
	ds_bpermute_b32 v29, v73, v28
	ds_bpermute_b32 v17, v66, v1
	v_cndmask_b32_e64 v1, -v28, v28, s[24:25]
	ds_bpermute_b32 v16, v66, v79
	v_cndmask_b32_e64 v18, -v79, v79, s[14:15]
	s_waitcnt lgkmcnt(2)
	v_add_f32_e32 v79, v1, v29
	v_and_b32_e32 v1, 3, v0
	v_lshrrev_b32_e32 v0, 2, v0
	v_lshlrev_b32_e32 v28, 6, v1
	v_bitop3_b32 v0, v28, v1, v0 bitop3:0x36
	ds_bpermute_b32 v28, v66, v71
	v_lshl_add_u32 v71, v0, 4, 0
	v_pk_add_f32 v[0:1], v[64:65], v[54:55]
	v_pk_add_f32 v[2:3], v[50:51], v[2:3]
	ds_bpermute_b32 v50, v67, v2
	ds_bpermute_b32 v51, v67, v3
	ds_bpermute_b32 v54, v67, v0
	ds_bpermute_b32 v55, v67, v1
	v_cndmask_b32_e64 v3, -v3, v3, s[16:17]
	v_cndmask_b32_e64 v2, -v2, v2, s[16:17]
	v_cndmask_b32_e64 v1, -v1, v1, s[16:17]
	v_cndmask_b32_e64 v0, -v0, v0, s[16:17]
	s_waitcnt lgkmcnt(0)
	v_pk_add_f32 v[0:1], v[0:1], v[54:55]
	v_pk_add_f32 v[2:3], v[2:3], v[50:51]
	ds_bpermute_b32 v50, v69, v2
	ds_bpermute_b32 v51, v69, v3
	ds_bpermute_b32 v54, v69, v0
	ds_bpermute_b32 v55, v69, v1
	v_cndmask_b32_e64 v3, -v3, v3, s[18:19]
	v_cndmask_b32_e64 v2, -v2, v2, s[18:19]
	v_cndmask_b32_e64 v1, -v1, v1, s[18:19]
	v_cndmask_b32_e64 v0, -v0, v0, s[18:19]
	s_waitcnt lgkmcnt(0)
	;; [unrolled: 11-line block ×4, first 2 shown]
	v_pk_add_f32 v[0:1], v[0:1], v[54:55]
	v_pk_add_f32 v[2:3], v[2:3], v[50:51]
	ds_bpermute_b32 v4, v66, v102
	ds_bpermute_b32 v5, v66, v107
	;; [unrolled: 1-line block ×6, first 2 shown]
	v_cndmask_b32_e64 v6, -v102, v102, s[14:15]
	v_cndmask_b32_e64 v7, -v107, v107, s[14:15]
	;; [unrolled: 1-line block ×6, first 2 shown]
	v_pk_add_f32 v[46:47], v[62:63], v[46:47]
	s_waitcnt lgkmcnt(0)
	v_pk_add_f32 v[2:3], v[0:1], v[54:55]
	v_pk_add_f32 v[0:1], v[64:65], v[50:51]
	;; [unrolled: 1-line block ×3, first 2 shown]
	ds_bpermute_b32 v50, v67, v46
	ds_bpermute_b32 v51, v67, v47
	ds_bpermute_b32 v6, v67, v4
	ds_bpermute_b32 v7, v67, v5
	v_cndmask_b32_e64 v47, -v47, v47, s[16:17]
	v_cndmask_b32_e64 v46, -v46, v46, s[16:17]
	v_cndmask_b32_e64 v5, -v5, v5, s[16:17]
	v_cndmask_b32_e64 v4, -v4, v4, s[16:17]
	s_waitcnt lgkmcnt(2)
	v_pk_add_f32 v[46:47], v[46:47], v[50:51]
	s_waitcnt lgkmcnt(0)
	v_pk_add_f32 v[4:5], v[4:5], v[6:7]
	ds_bpermute_b32 v50, v69, v46
	ds_bpermute_b32 v51, v69, v47
	ds_bpermute_b32 v6, v69, v4
	ds_bpermute_b32 v7, v69, v5
	v_cndmask_b32_e64 v47, -v47, v47, s[18:19]
	v_cndmask_b32_e64 v46, -v46, v46, s[18:19]
	v_cndmask_b32_e64 v5, -v5, v5, s[18:19]
	v_cndmask_b32_e64 v4, -v4, v4, s[18:19]
	s_waitcnt lgkmcnt(2)
	v_pk_add_f32 v[46:47], v[46:47], v[50:51]
	s_waitcnt lgkmcnt(0)
	v_pk_add_f32 v[4:5], v[4:5], v[6:7]
	;; [unrolled: 12-line block ×3, first 2 shown]
	ds_bpermute_b32 v50, v72, v46
	ds_bpermute_b32 v51, v72, v47
	ds_bpermute_b32 v6, v72, v4
	ds_bpermute_b32 v7, v72, v5
	v_cndmask_b32_e64 v47, -v47, v47, s[22:23]
	v_cndmask_b32_e64 v46, -v46, v46, s[22:23]
	;; [unrolled: 1-line block ×4, first 2 shown]
	s_waitcnt lgkmcnt(2)
	v_pk_add_f32 v[46:47], v[46:47], v[50:51]
	ds_bpermute_b32 v8, v66, v103
	ds_bpermute_b32 v9, v66, v108
	s_waitcnt lgkmcnt(2)
	v_pk_add_f32 v[4:5], v[4:5], v[6:7]
	ds_bpermute_b32 v6, v73, v46
	ds_bpermute_b32 v7, v73, v47
	v_cndmask_b32_e64 v10, -v103, v103, s[14:15]
	v_cndmask_b32_e64 v11, -v108, v108, s[14:15]
	;; [unrolled: 1-line block ×4, first 2 shown]
	v_pk_add_f32 v[44:45], v[60:61], v[44:45]
	s_waitcnt lgkmcnt(0)
	v_pk_add_f32 v[6:7], v[46:47], v[6:7]
	v_pk_add_f32 v[8:9], v[10:11], v[8:9]
	ds_bpermute_b32 v46, v67, v44
	ds_bpermute_b32 v47, v67, v45
	ds_bpermute_b32 v10, v67, v8
	ds_bpermute_b32 v11, v67, v9
	v_cndmask_b32_e64 v45, -v45, v45, s[16:17]
	v_cndmask_b32_e64 v44, -v44, v44, s[16:17]
	v_cndmask_b32_e64 v9, -v9, v9, s[16:17]
	v_cndmask_b32_e64 v8, -v8, v8, s[16:17]
	s_waitcnt lgkmcnt(2)
	v_pk_add_f32 v[44:45], v[44:45], v[46:47]
	s_waitcnt lgkmcnt(0)
	v_pk_add_f32 v[8:9], v[8:9], v[10:11]
	ds_bpermute_b32 v46, v69, v44
	ds_bpermute_b32 v47, v69, v45
	ds_bpermute_b32 v10, v69, v8
	ds_bpermute_b32 v11, v69, v9
	v_cndmask_b32_e64 v45, -v45, v45, s[18:19]
	v_cndmask_b32_e64 v44, -v44, v44, s[18:19]
	v_cndmask_b32_e64 v9, -v9, v9, s[18:19]
	v_cndmask_b32_e64 v8, -v8, v8, s[18:19]
	s_waitcnt lgkmcnt(2)
	v_pk_add_f32 v[44:45], v[44:45], v[46:47]
	s_waitcnt lgkmcnt(0)
	;; [unrolled: 12-line block ×3, first 2 shown]
	v_pk_add_f32 v[8:9], v[8:9], v[10:11]
	ds_bpermute_b32 v46, v72, v44
	ds_bpermute_b32 v47, v72, v45
	;; [unrolled: 1-line block ×4, first 2 shown]
	v_cndmask_b32_e64 v45, -v45, v45, s[22:23]
	v_cndmask_b32_e64 v44, -v44, v44, s[22:23]
	;; [unrolled: 1-line block ×4, first 2 shown]
	s_waitcnt lgkmcnt(2)
	v_pk_add_f32 v[44:45], v[44:45], v[46:47]
	ds_bpermute_b32 v13, v66, v109
	s_waitcnt lgkmcnt(1)
	v_pk_add_f32 v[8:9], v[8:9], v[10:11]
	ds_bpermute_b32 v10, v73, v44
	ds_bpermute_b32 v11, v73, v45
	v_cndmask_b32_e64 v15, -v109, v109, s[14:15]
	v_cndmask_b32_e64 v45, -v45, v45, s[24:25]
	v_cndmask_b32_e64 v44, -v44, v44, s[24:25]
	v_pk_add_f32 v[42:43], v[58:59], v[42:43]
	s_waitcnt lgkmcnt(0)
	v_pk_add_f32 v[10:11], v[44:45], v[10:11]
	v_pk_add_f32 v[12:13], v[14:15], v[12:13]
	ds_bpermute_b32 v44, v67, v42
	ds_bpermute_b32 v45, v67, v43
	ds_bpermute_b32 v14, v67, v12
	ds_bpermute_b32 v15, v67, v13
	v_cndmask_b32_e64 v43, -v43, v43, s[16:17]
	v_cndmask_b32_e64 v42, -v42, v42, s[16:17]
	v_cndmask_b32_e64 v13, -v13, v13, s[16:17]
	v_cndmask_b32_e64 v12, -v12, v12, s[16:17]
	s_waitcnt lgkmcnt(2)
	v_pk_add_f32 v[42:43], v[42:43], v[44:45]
	s_waitcnt lgkmcnt(0)
	v_pk_add_f32 v[12:13], v[12:13], v[14:15]
	ds_bpermute_b32 v44, v69, v42
	ds_bpermute_b32 v45, v69, v43
	ds_bpermute_b32 v14, v69, v12
	ds_bpermute_b32 v15, v69, v13
	v_cndmask_b32_e64 v43, -v43, v43, s[18:19]
	v_cndmask_b32_e64 v42, -v42, v42, s[18:19]
	v_cndmask_b32_e64 v13, -v13, v13, s[18:19]
	v_cndmask_b32_e64 v12, -v12, v12, s[18:19]
	s_waitcnt lgkmcnt(2)
	v_pk_add_f32 v[42:43], v[42:43], v[44:45]
	s_waitcnt lgkmcnt(0)
	;; [unrolled: 12-line block ×4, first 2 shown]
	v_pk_add_f32 v[12:13], v[12:13], v[14:15]
	ds_bpermute_b32 v14, v73, v42
	ds_bpermute_b32 v15, v73, v43
	v_cndmask_b32_e64 v43, -v43, v43, s[24:25]
	v_cndmask_b32_e64 v42, -v42, v42, s[24:25]
	v_pk_add_f32 v[38:39], v[56:57], v[38:39]
	v_pk_add_f32 v[20:21], v[22:23], v[20:21]
	s_waitcnt lgkmcnt(0)
	v_pk_add_f32 v[14:15], v[42:43], v[14:15]
	ds_bpermute_b32 v42, v67, v38
	ds_bpermute_b32 v43, v67, v39
	ds_bpermute_b32 v22, v67, v20
	ds_bpermute_b32 v23, v67, v21
	v_cndmask_b32_e64 v39, -v39, v39, s[16:17]
	v_cndmask_b32_e64 v38, -v38, v38, s[16:17]
	v_cndmask_b32_e64 v21, -v21, v21, s[16:17]
	v_cndmask_b32_e64 v20, -v20, v20, s[16:17]
	s_waitcnt lgkmcnt(2)
	v_pk_add_f32 v[38:39], v[38:39], v[42:43]
	s_waitcnt lgkmcnt(0)
	v_pk_add_f32 v[20:21], v[20:21], v[22:23]
	ds_bpermute_b32 v42, v69, v38
	ds_bpermute_b32 v43, v69, v39
	ds_bpermute_b32 v22, v69, v20
	ds_bpermute_b32 v23, v69, v21
	v_cndmask_b32_e64 v39, -v39, v39, s[18:19]
	v_cndmask_b32_e64 v38, -v38, v38, s[18:19]
	v_cndmask_b32_e64 v21, -v21, v21, s[18:19]
	v_cndmask_b32_e64 v20, -v20, v20, s[18:19]
	s_waitcnt lgkmcnt(2)
	;; [unrolled: 12-line block ×3, first 2 shown]
	v_pk_add_f32 v[38:39], v[38:39], v[42:43]
	s_waitcnt lgkmcnt(0)
	v_pk_add_f32 v[20:21], v[20:21], v[22:23]
	ds_bpermute_b32 v42, v72, v38
	ds_bpermute_b32 v43, v72, v39
	;; [unrolled: 1-line block ×4, first 2 shown]
	v_cndmask_b32_e64 v39, -v39, v39, s[22:23]
	v_cndmask_b32_e64 v38, -v38, v38, s[22:23]
	ds_bpermute_b32 v32, v66, v81
	v_add_f32_e32 v84, v24, v26
	ds_bpermute_b32 v24, v66, v80
	v_cndmask_b32_e64 v21, -v21, v21, s[22:23]
	v_cndmask_b32_e64 v20, -v20, v20, s[22:23]
	s_waitcnt lgkmcnt(4)
	v_pk_add_f32 v[38:39], v[38:39], v[42:43]
	s_waitcnt lgkmcnt(2)
	v_pk_add_f32 v[20:21], v[20:21], v[22:23]
	ds_bpermute_b32 v22, v73, v38
	ds_bpermute_b32 v23, v73, v39
	v_cndmask_b32_e64 v34, -v81, v81, s[14:15]
	v_cndmask_b32_e64 v26, -v80, v80, s[14:15]
	;; [unrolled: 1-line block ×4, first 2 shown]
	v_pk_add_f32 v[36:37], v[52:53], v[36:37]
	s_waitcnt lgkmcnt(3)
	v_pk_add_f32 v[32:33], v[34:35], v[32:33]
	s_waitcnt lgkmcnt(2)
	;; [unrolled: 2-line block ×3, first 2 shown]
	v_pk_add_f32 v[22:23], v[38:39], v[22:23]
	ds_bpermute_b32 v34, v67, v32
	ds_bpermute_b32 v35, v67, v33
	ds_bpermute_b32 v38, v67, v36
	ds_bpermute_b32 v39, v67, v37
	ds_bpermute_b32 v26, v67, v24
	ds_bpermute_b32 v27, v67, v25
	v_cndmask_b32_e64 v33, -v33, v33, s[16:17]
	v_cndmask_b32_e64 v32, -v32, v32, s[16:17]
	v_cndmask_b32_e64 v37, -v37, v37, s[16:17]
	v_cndmask_b32_e64 v36, -v36, v36, s[16:17]
	v_cndmask_b32_e64 v25, -v25, v25, s[16:17]
	v_cndmask_b32_e64 v24, -v24, v24, s[16:17]
	s_waitcnt lgkmcnt(2)
	v_pk_add_f32 v[36:37], v[36:37], v[38:39]
	v_pk_add_f32 v[32:33], v[32:33], v[34:35]
	s_waitcnt lgkmcnt(0)
	v_pk_add_f32 v[24:25], v[24:25], v[26:27]
	ds_bpermute_b32 v34, v69, v32
	ds_bpermute_b32 v35, v69, v33
	ds_bpermute_b32 v38, v69, v36
	ds_bpermute_b32 v39, v69, v37
	ds_bpermute_b32 v26, v69, v24
	ds_bpermute_b32 v27, v69, v25
	v_cndmask_b32_e64 v33, -v33, v33, s[18:19]
	v_cndmask_b32_e64 v32, -v32, v32, s[18:19]
	v_cndmask_b32_e64 v37, -v37, v37, s[18:19]
	v_cndmask_b32_e64 v36, -v36, v36, s[18:19]
	v_cndmask_b32_e64 v25, -v25, v25, s[18:19]
	v_cndmask_b32_e64 v24, -v24, v24, s[18:19]
	s_waitcnt lgkmcnt(2)
	v_pk_add_f32 v[36:37], v[36:37], v[38:39]
	v_pk_add_f32 v[32:33], v[32:33], v[34:35]
	s_waitcnt lgkmcnt(0)
	;; [unrolled: 17-line block ×4, first 2 shown]
	v_pk_add_f32 v[24:25], v[24:25], v[26:27]
	ds_bpermute_b32 v29, v66, v74
	ds_bpermute_b32 v34, v73, v32
	;; [unrolled: 1-line block ×7, first 2 shown]
	v_pk_add_f32 v[16:17], v[18:19], v[16:17]
	ds_bpermute_b32 v18, v67, v16
	ds_bpermute_b32 v19, v67, v17
	v_cndmask_b32_e64 v31, -v74, v74, s[14:15]
	v_cndmask_b32_e64 v33, -v33, v33, s[24:25]
	;; [unrolled: 1-line block ×7, first 2 shown]
	s_waitcnt lgkmcnt(4)
	v_pk_add_f32 v[38:39], v[36:37], v[38:39]
	v_pk_add_f32 v[36:37], v[32:33], v[34:35]
	;; [unrolled: 1-line block ×3, first 2 shown]
	s_waitcnt lgkmcnt(2)
	v_pk_add_f32 v[48:49], v[24:25], v[26:27]
	v_pk_add_f32 v[24:25], v[30:31], v[28:29]
	v_cndmask_b32_e64 v17, -v17, v17, s[16:17]
	v_cndmask_b32_e64 v16, -v16, v16, s[16:17]
	ds_bpermute_b32 v26, v67, v24
	ds_bpermute_b32 v27, v67, v25
	s_waitcnt lgkmcnt(2)
	v_pk_add_f32 v[16:17], v[16:17], v[18:19]
	ds_bpermute_b32 v18, v69, v16
	ds_bpermute_b32 v19, v69, v17
	v_cndmask_b32_e64 v25, -v25, v25, s[16:17]
	v_cndmask_b32_e64 v24, -v24, v24, s[16:17]
	s_waitcnt lgkmcnt(2)
	v_pk_add_f32 v[24:25], v[24:25], v[26:27]
	v_cndmask_b32_e64 v17, -v17, v17, s[18:19]
	v_cndmask_b32_e64 v16, -v16, v16, s[18:19]
	ds_bpermute_b32 v26, v69, v24
	ds_bpermute_b32 v27, v69, v25
	s_waitcnt lgkmcnt(2)
	v_pk_add_f32 v[16:17], v[16:17], v[18:19]
	ds_bpermute_b32 v18, v70, v16
	ds_bpermute_b32 v19, v70, v17
	v_cndmask_b32_e64 v25, -v25, v25, s[18:19]
	v_cndmask_b32_e64 v24, -v24, v24, s[18:19]
	s_waitcnt lgkmcnt(2)
	v_pk_add_f32 v[24:25], v[24:25], v[26:27]
	v_cndmask_b32_e64 v17, -v17, v17, s[20:21]
	v_cndmask_b32_e64 v16, -v16, v16, s[20:21]
	ds_bpermute_b32 v26, v70, v24
	ds_bpermute_b32 v27, v70, v25
	s_waitcnt lgkmcnt(2)
	v_pk_add_f32 v[16:17], v[16:17], v[18:19]
	ds_bpermute_b32 v18, v72, v16
	ds_bpermute_b32 v19, v72, v17
	v_cndmask_b32_e64 v25, -v25, v25, s[20:21]
	v_cndmask_b32_e64 v24, -v24, v24, s[20:21]
	ds_bpermute_b32 v34, v67, v32
	ds_bpermute_b32 v35, v67, v33
	s_waitcnt lgkmcnt(4)
	v_pk_add_f32 v[24:25], v[24:25], v[26:27]
	v_cndmask_b32_e64 v17, -v17, v17, s[22:23]
	v_cndmask_b32_e64 v16, -v16, v16, s[22:23]
	ds_bpermute_b32 v26, v72, v24
	ds_bpermute_b32 v27, v72, v25
	s_waitcnt lgkmcnt(4)
	v_pk_add_f32 v[16:17], v[16:17], v[18:19]
	ds_bpermute_b32 v18, v73, v16
	ds_bpermute_b32 v19, v73, v17
	v_cndmask_b32_e64 v33, -v33, v33, s[16:17]
	v_cndmask_b32_e64 v32, -v32, v32, s[16:17]
	s_waitcnt lgkmcnt(4)
	v_pk_add_f32 v[32:33], v[32:33], v[34:35]
	v_cndmask_b32_e64 v25, -v25, v25, s[22:23]
	v_cndmask_b32_e64 v24, -v24, v24, s[22:23]
	ds_bpermute_b32 v34, v69, v32
	ds_bpermute_b32 v35, v69, v33
	s_waitcnt lgkmcnt(4)
	v_pk_add_f32 v[24:25], v[24:25], v[26:27]
	v_cndmask_b32_e64 v17, -v17, v17, s[24:25]
	v_cndmask_b32_e64 v16, -v16, v16, s[24:25]
	ds_write_b128 v68, v[82:85] offset:24576
	ds_write_b128 v68, v[76:79] offset:28672
	s_waitcnt lgkmcnt(0)
	s_barrier
	ds_bpermute_b32 v26, v73, v24
	ds_bpermute_b32 v27, v73, v25
	v_pk_add_f32 v[56:57], v[16:17], v[18:19]
	ds_read_b128 v[16:19], v71
	v_cndmask_b32_e64 v33, -v33, v33, s[18:19]
	v_cndmask_b32_e64 v32, -v32, v32, s[18:19]
	v_pk_add_f32 v[32:33], v[32:33], v[34:35]
	v_cndmask_b32_e64 v25, -v25, v25, s[24:25]
	v_cndmask_b32_e64 v24, -v24, v24, s[24:25]
	ds_bpermute_b32 v34, v70, v32
	ds_bpermute_b32 v35, v70, v33
	s_waitcnt lgkmcnt(3)
	v_pk_add_f32 v[58:59], v[24:25], v[26:27]
	ds_read_b128 v[24:27], v71 offset:4096
	s_waitcnt lgkmcnt(3)
	ds_bpermute_b32 v28, v66, v16
	ds_bpermute_b32 v29, v66, v17
	;; [unrolled: 1-line block ×4, first 2 shown]
	v_cndmask_b32_e64 v33, -v33, v33, s[20:21]
	v_cndmask_b32_e64 v32, -v32, v32, s[20:21]
	;; [unrolled: 1-line block ×6, first 2 shown]
	s_waitcnt lgkmcnt(5)
	v_pk_add_f32 v[32:33], v[32:33], v[34:35]
	s_waitcnt lgkmcnt(0)
	v_pk_add_f32 v[18:19], v[18:19], v[30:31]
	v_pk_add_f32 v[16:17], v[16:17], v[28:29]
	ds_bpermute_b32 v34, v72, v32
	ds_bpermute_b32 v35, v72, v33
	;; [unrolled: 1-line block ×6, first 2 shown]
	v_cndmask_b32_e64 v33, -v33, v33, s[22:23]
	v_cndmask_b32_e64 v32, -v32, v32, s[22:23]
	;; [unrolled: 1-line block ×6, first 2 shown]
	s_waitcnt lgkmcnt(4)
	v_pk_add_f32 v[32:33], v[32:33], v[34:35]
	s_waitcnt lgkmcnt(0)
	v_pk_add_f32 v[18:19], v[18:19], v[30:31]
	v_pk_add_f32 v[16:17], v[16:17], v[28:29]
	ds_bpermute_b32 v28, v66, v24
	ds_bpermute_b32 v29, v66, v25
	;; [unrolled: 1-line block ×8, first 2 shown]
	v_cndmask_b32_e64 v25, -v25, v25, s[14:15]
	v_cndmask_b32_e64 v24, -v24, v24, s[14:15]
	v_cndmask_b32_e64 v27, -v27, v27, s[14:15]
	v_cndmask_b32_e64 v26, -v26, v26, s[14:15]
	v_cndmask_b32_e64 v5, -v5, v5, s[24:25]
	v_cndmask_b32_e64 v4, -v4, v4, s[24:25]
	v_cndmask_b32_e64 v33, -v33, v33, s[24:25]
	v_cndmask_b32_e64 v32, -v32, v32, s[24:25]
	s_waitcnt lgkmcnt(4)
	v_pk_add_f32 v[26:27], v[26:27], v[30:31]
	v_pk_add_f32 v[24:25], v[24:25], v[28:29]
	s_waitcnt lgkmcnt(2)
	v_pk_add_f32 v[4:5], v[4:5], v[50:51]
	ds_bpermute_b32 v42, v73, v20
	ds_bpermute_b32 v43, v73, v21
	s_waitcnt lgkmcnt(2)
	v_pk_add_f32 v[50:51], v[32:33], v[34:35]
	ds_bpermute_b32 v32, v67, v24
	ds_bpermute_b32 v33, v67, v25
	;; [unrolled: 1-line block ×4, first 2 shown]
	ds_read_b128 v[28:31], v71 offset:8192
	v_cndmask_b32_e64 v21, -v21, v21, s[24:25]
	v_cndmask_b32_e64 v20, -v20, v20, s[24:25]
	v_cndmask_b32_e64 v25, -v25, v25, s[16:17]
	v_cndmask_b32_e64 v24, -v24, v24, s[16:17]
	v_cndmask_b32_e64 v27, -v27, v27, s[16:17]
	v_cndmask_b32_e64 v26, -v26, v26, s[16:17]
	s_waitcnt lgkmcnt(5)
	v_pk_add_f32 v[20:21], v[20:21], v[42:43]
	s_waitcnt lgkmcnt(1)
	v_pk_add_f32 v[26:27], v[26:27], v[34:35]
	v_pk_add_f32 v[24:25], v[24:25], v[32:33]
	ds_read_b128 v[32:35], v71 offset:12288
	s_waitcnt lgkmcnt(1)
	ds_bpermute_b32 v40, v66, v28
	ds_bpermute_b32 v41, v66, v29
	;; [unrolled: 1-line block ×4, first 2 shown]
	v_cndmask_b32_e64 v29, -v29, v29, s[14:15]
	v_cndmask_b32_e64 v28, -v28, v28, s[14:15]
	;; [unrolled: 1-line block ×4, first 2 shown]
	s_waitcnt lgkmcnt(0)
	v_pk_add_f32 v[30:31], v[30:31], v[42:43]
	v_pk_add_f32 v[28:29], v[28:29], v[40:41]
	ds_bpermute_b32 v40, v67, v28
	ds_bpermute_b32 v41, v67, v29
	;; [unrolled: 1-line block ×4, first 2 shown]
	v_cndmask_b32_e64 v29, -v29, v29, s[16:17]
	v_cndmask_b32_e64 v28, -v28, v28, s[16:17]
	;; [unrolled: 1-line block ×4, first 2 shown]
	s_waitcnt lgkmcnt(0)
	v_pk_add_f32 v[30:31], v[30:31], v[42:43]
	v_pk_add_f32 v[28:29], v[28:29], v[40:41]
	ds_bpermute_b32 v40, v66, v32
	ds_bpermute_b32 v41, v66, v33
	;; [unrolled: 1-line block ×8, first 2 shown]
	v_cndmask_b32_e64 v33, -v33, v33, s[14:15]
	v_cndmask_b32_e64 v32, -v32, v32, s[14:15]
	;; [unrolled: 1-line block ×8, first 2 shown]
	s_waitcnt lgkmcnt(4)
	v_pk_add_f32 v[34:35], v[34:35], v[42:43]
	v_pk_add_f32 v[32:33], v[32:33], v[40:41]
	s_waitcnt lgkmcnt(2)
	v_pk_add_f32 v[8:9], v[8:9], v[46:47]
	s_waitcnt lgkmcnt(0)
	v_pk_add_f32 v[12:13], v[12:13], v[44:45]
	ds_bpermute_b32 v44, v67, v32
	ds_bpermute_b32 v45, v67, v33
	;; [unrolled: 1-line block ×4, first 2 shown]
	ds_read_b128 v[40:43], v71 offset:16384
	v_cndmask_b32_e64 v33, -v33, v33, s[16:17]
	v_cndmask_b32_e64 v32, -v32, v32, s[16:17]
	;; [unrolled: 1-line block ×4, first 2 shown]
	s_waitcnt lgkmcnt(1)
	v_pk_add_f32 v[34:35], v[34:35], v[46:47]
	v_pk_add_f32 v[32:33], v[32:33], v[44:45]
	ds_read_b128 v[44:47], v71 offset:20480
	s_waitcnt lgkmcnt(1)
	ds_bpermute_b32 v52, v66, v40
	ds_bpermute_b32 v53, v66, v41
	ds_bpermute_b32 v54, v66, v42
	ds_bpermute_b32 v55, v66, v43
	v_cndmask_b32_e64 v41, -v41, v41, s[14:15]
	v_cndmask_b32_e64 v40, -v40, v40, s[14:15]
	v_cndmask_b32_e64 v43, -v43, v43, s[14:15]
	v_cndmask_b32_e64 v42, -v42, v42, s[14:15]
	s_waitcnt lgkmcnt(0)
	v_pk_add_f32 v[42:43], v[42:43], v[54:55]
	v_pk_add_f32 v[40:41], v[40:41], v[52:53]
	ds_bpermute_b32 v52, v67, v40
	ds_bpermute_b32 v53, v67, v41
	ds_bpermute_b32 v54, v67, v42
	ds_bpermute_b32 v55, v67, v43
	v_cndmask_b32_e64 v41, -v41, v41, s[16:17]
	v_cndmask_b32_e64 v40, -v40, v40, s[16:17]
	v_cndmask_b32_e64 v43, -v43, v43, s[16:17]
	v_cndmask_b32_e64 v42, -v42, v42, s[16:17]
	s_waitcnt lgkmcnt(0)
	v_pk_add_f32 v[42:43], v[42:43], v[54:55]
	v_pk_add_f32 v[40:41], v[40:41], v[52:53]
	;; [unrolled: 11-line block ×3, first 2 shown]
	ds_bpermute_b32 v60, v67, v44
	ds_bpermute_b32 v61, v67, v45
	;; [unrolled: 1-line block ×4, first 2 shown]
	v_cndmask_b32_e64 v45, -v45, v45, s[16:17]
	v_cndmask_b32_e64 v44, -v44, v44, s[16:17]
	;; [unrolled: 1-line block ×4, first 2 shown]
	ds_read_b128 v[52:55], v71 offset:24576
	s_waitcnt lgkmcnt(1)
	v_pk_add_f32 v[46:47], v[46:47], v[62:63]
	v_pk_add_f32 v[44:45], v[44:45], v[60:61]
	ds_read_b128 v[60:63], v71 offset:28672
	s_waitcnt lgkmcnt(0)
	s_barrier
	ds_write_b128 v68, v[0:3]
	ds_write_b128 v68, v[4:7] offset:4096
	ds_write_b128 v68, v[8:11] offset:8192
	;; [unrolled: 1-line block ×7, first 2 shown]
	s_waitcnt lgkmcnt(0)
	s_barrier
	ds_read_b128 v[4:7], v71
	ds_read_b128 v[8:11], v71 offset:4096
	ds_bpermute_b32 v64, v66, v52
	ds_bpermute_b32 v65, v66, v53
	;; [unrolled: 1-line block ×3, first 2 shown]
	s_waitcnt lgkmcnt(4)
	ds_bpermute_b32 v12, v66, v4
	ds_bpermute_b32 v13, v66, v5
	ds_bpermute_b32 v14, v66, v6
	ds_bpermute_b32 v15, v66, v7
	v_cndmask_b32_e64 v5, -v5, v5, s[14:15]
	v_cndmask_b32_e64 v4, -v4, v4, s[14:15]
	v_cndmask_b32_e64 v7, -v7, v7, s[14:15]
	v_cndmask_b32_e64 v6, -v6, v6, s[14:15]
	s_waitcnt lgkmcnt(0)
	v_pk_add_f32 v[6:7], v[6:7], v[14:15]
	v_pk_add_f32 v[4:5], v[4:5], v[12:13]
	ds_bpermute_b32 v12, v67, v4
	ds_bpermute_b32 v13, v67, v5
	ds_bpermute_b32 v14, v67, v6
	ds_bpermute_b32 v15, v67, v7
	v_cndmask_b32_e64 v5, -v5, v5, s[16:17]
	v_cndmask_b32_e64 v4, -v4, v4, s[16:17]
	v_cndmask_b32_e64 v7, -v7, v7, s[16:17]
	v_cndmask_b32_e64 v6, -v6, v6, s[16:17]
	s_waitcnt lgkmcnt(0)
	v_pk_add_f32 v[6:7], v[6:7], v[14:15]
	v_pk_add_f32 v[4:5], v[4:5], v[12:13]
	;; [unrolled: 11-line block ×3, first 2 shown]
	ds_bpermute_b32 v20, v67, v8
	ds_bpermute_b32 v21, v67, v9
	;; [unrolled: 1-line block ×4, first 2 shown]
	ds_read_b128 v[12:15], v71 offset:8192
	v_cndmask_b32_e64 v9, -v9, v9, s[16:17]
	v_cndmask_b32_e64 v8, -v8, v8, s[16:17]
	;; [unrolled: 1-line block ×4, first 2 shown]
	s_waitcnt lgkmcnt(1)
	v_pk_add_f32 v[10:11], v[10:11], v[22:23]
	v_pk_add_f32 v[8:9], v[8:9], v[20:21]
	ds_read_b128 v[20:23], v71 offset:12288
	s_waitcnt lgkmcnt(1)
	ds_bpermute_b32 v36, v66, v12
	ds_bpermute_b32 v37, v66, v13
	ds_bpermute_b32 v38, v66, v14
	ds_bpermute_b32 v39, v66, v15
	v_cndmask_b32_e64 v13, -v13, v13, s[14:15]
	v_cndmask_b32_e64 v12, -v12, v12, s[14:15]
	v_cndmask_b32_e64 v15, -v15, v15, s[14:15]
	v_cndmask_b32_e64 v14, -v14, v14, s[14:15]
	s_waitcnt lgkmcnt(0)
	v_pk_add_f32 v[14:15], v[14:15], v[38:39]
	v_pk_add_f32 v[12:13], v[12:13], v[36:37]
	ds_bpermute_b32 v36, v67, v12
	ds_bpermute_b32 v37, v67, v13
	ds_bpermute_b32 v38, v67, v14
	ds_bpermute_b32 v39, v67, v15
	v_cndmask_b32_e64 v13, -v13, v13, s[16:17]
	v_cndmask_b32_e64 v12, -v12, v12, s[16:17]
	v_cndmask_b32_e64 v15, -v15, v15, s[16:17]
	v_cndmask_b32_e64 v14, -v14, v14, s[16:17]
	s_waitcnt lgkmcnt(0)
	v_pk_add_f32 v[14:15], v[14:15], v[38:39]
	v_pk_add_f32 v[12:13], v[12:13], v[36:37]
	;; [unrolled: 11-line block ×3, first 2 shown]
	ds_bpermute_b32 v73, v66, v55
	ds_bpermute_b32 v48, v67, v20
	;; [unrolled: 1-line block ×5, first 2 shown]
	ds_read_b128 v[36:39], v71 offset:16384
	v_cndmask_b32_e64 v53, -v53, v53, s[14:15]
	v_cndmask_b32_e64 v52, -v52, v52, s[14:15]
	;; [unrolled: 1-line block ×8, first 2 shown]
	s_waitcnt lgkmcnt(5)
	v_pk_add_f32 v[54:55], v[54:55], v[72:73]
	v_pk_add_f32 v[52:53], v[52:53], v[64:65]
	s_waitcnt lgkmcnt(1)
	v_pk_add_f32 v[22:23], v[22:23], v[50:51]
	v_pk_add_f32 v[20:21], v[20:21], v[48:49]
	ds_read_b128 v[48:51], v71 offset:20480
	s_waitcnt lgkmcnt(1)
	ds_bpermute_b32 v56, v66, v36
	ds_bpermute_b32 v57, v66, v37
	ds_bpermute_b32 v58, v66, v38
	ds_bpermute_b32 v59, v66, v39
	ds_bpermute_b32 v64, v67, v52
	ds_bpermute_b32 v65, v67, v53
	ds_bpermute_b32 v72, v67, v54
	ds_bpermute_b32 v73, v67, v55
	v_cndmask_b32_e64 v37, -v37, v37, s[14:15]
	v_cndmask_b32_e64 v36, -v36, v36, s[14:15]
	v_cndmask_b32_e64 v39, -v39, v39, s[14:15]
	v_cndmask_b32_e64 v38, -v38, v38, s[14:15]
	v_cndmask_b32_e64 v53, -v53, v53, s[16:17]
	v_cndmask_b32_e64 v52, -v52, v52, s[16:17]
	v_cndmask_b32_e64 v55, -v55, v55, s[16:17]
	v_cndmask_b32_e64 v54, -v54, v54, s[16:17]
	s_waitcnt lgkmcnt(4)
	v_pk_add_f32 v[38:39], v[38:39], v[58:59]
	v_pk_add_f32 v[36:37], v[36:37], v[56:57]
	s_waitcnt lgkmcnt(0)
	v_pk_add_f32 v[54:55], v[54:55], v[72:73]
	v_pk_add_f32 v[52:53], v[52:53], v[64:65]
	ds_bpermute_b32 v64, v66, v60
	ds_bpermute_b32 v65, v66, v61
	ds_bpermute_b32 v72, v66, v62
	ds_bpermute_b32 v73, v66, v63
	ds_bpermute_b32 v56, v67, v36
	ds_bpermute_b32 v57, v67, v37
	ds_bpermute_b32 v58, v67, v38
	ds_bpermute_b32 v59, v67, v39
	v_cndmask_b32_e64 v61, -v61, v61, s[14:15]
	v_cndmask_b32_e64 v60, -v60, v60, s[14:15]
	v_cndmask_b32_e64 v63, -v63, v63, s[14:15]
	v_cndmask_b32_e64 v62, -v62, v62, s[14:15]
	v_cndmask_b32_e64 v37, -v37, v37, s[16:17]
	v_cndmask_b32_e64 v36, -v36, v36, s[16:17]
	v_cndmask_b32_e64 v39, -v39, v39, s[16:17]
	v_cndmask_b32_e64 v38, -v38, v38, s[16:17]
	s_waitcnt lgkmcnt(4)
	v_pk_add_f32 v[62:63], v[62:63], v[72:73]
	v_pk_add_f32 v[60:61], v[60:61], v[64:65]
	s_waitcnt lgkmcnt(0)
	v_pk_add_f32 v[58:59], v[38:39], v[58:59]
	v_pk_add_f32 v[56:57], v[36:37], v[56:57]
	;; [unrolled: 22-line block ×3, first 2 shown]
	ds_bpermute_b32 v48, v67, v36
	ds_bpermute_b32 v49, v67, v37
	;; [unrolled: 1-line block ×4, first 2 shown]
	v_cndmask_b32_e64 v63, -v37, v37, s[16:17]
	v_cndmask_b32_e64 v62, -v36, v36, s[16:17]
	ds_read_b128 v[36:39], v71 offset:24576
	v_cndmask_b32_e64 v51, -v51, v51, s[16:17]
	v_cndmask_b32_e64 v50, -v50, v50, s[16:17]
	s_waitcnt lgkmcnt(1)
	v_pk_add_f32 v[50:51], v[50:51], v[60:61]
	v_pk_add_f32 v[48:49], v[62:63], v[48:49]
	ds_read_b128 v[60:63], v71 offset:28672
	s_waitcnt lgkmcnt(1)
	ds_bpermute_b32 v64, v66, v36
	ds_bpermute_b32 v65, v66, v37
	ds_bpermute_b32 v72, v66, v38
	ds_bpermute_b32 v73, v66, v39
	v_cndmask_b32_e64 v37, -v37, v37, s[14:15]
	v_cndmask_b32_e64 v36, -v36, v36, s[14:15]
	v_cndmask_b32_e64 v39, -v39, v39, s[14:15]
	v_cndmask_b32_e64 v38, -v38, v38, s[14:15]
	s_waitcnt lgkmcnt(0)
	v_pk_add_f32 v[38:39], v[38:39], v[72:73]
	v_pk_add_f32 v[36:37], v[36:37], v[64:65]
	ds_bpermute_b32 v64, v67, v36
	ds_bpermute_b32 v65, v67, v37
	ds_bpermute_b32 v72, v67, v38
	ds_bpermute_b32 v73, v67, v39
	v_cndmask_b32_e64 v37, -v37, v37, s[16:17]
	v_cndmask_b32_e64 v36, -v36, v36, s[16:17]
	v_cndmask_b32_e64 v39, -v39, v39, s[16:17]
	v_cndmask_b32_e64 v38, -v38, v38, s[16:17]
	s_waitcnt lgkmcnt(0)
	v_pk_add_f32 v[74:75], v[38:39], v[72:73]
	v_pk_add_f32 v[72:73], v[36:37], v[64:65]
	;; [unrolled: 11-line block ×4, first 2 shown]
	s_barrier
	ds_write_b128 v71, v[16:19]
	ds_write_b128 v71, v[24:27] offset:4096
	ds_write_b128 v71, v[28:31] offset:8192
	;; [unrolled: 1-line block ×7, first 2 shown]
	s_waitcnt lgkmcnt(0)
	s_barrier
	ds_read_b128 v[32:35], v68
	ds_read_b128 v[0:3], v68 offset:4096
	ds_read_b128 v[40:43], v68 offset:8192
	;; [unrolled: 1-line block ×7, first 2 shown]
	s_waitcnt lgkmcnt(0)
	s_barrier
	ds_write_b128 v71, v[4:7]
	ds_write_b128 v71, v[8:11] offset:4096
	ds_write_b128 v71, v[12:15] offset:8192
	;; [unrolled: 1-line block ×7, first 2 shown]
	s_waitcnt lgkmcnt(0)
	s_barrier
	ds_read_b128 v[20:23], v68
	ds_read_b128 v[8:11], v68 offset:4096
	ds_read_b128 v[48:51], v68 offset:8192
	;; [unrolled: 1-line block ×7, first 2 shown]
	s_mul_i32 s0, s38, s3
	s_mul_hi_u32 s1, s38, s2
	s_add_i32 s0, s1, s0
	s_mul_i32 s1, s39, s2
	s_add_i32 s1, s0, s1
	s_mul_i32 s0, s38, s2
	s_lshl_b64 s[0:1], s[0:1], 1
	s_add_u32 s0, s30, s0
	v_pk_add_f32 v[82:83], v[34:35], v[42:43]
	v_pk_add_f32 v[80:81], v[32:33], v[40:41]
	;; [unrolled: 1-line block ×4, first 2 shown]
	s_waitcnt lgkmcnt(5)
	v_pk_add_f32 v[90:91], v[22:23], v[50:51]
	v_pk_add_f32 v[88:89], v[20:21], v[48:49]
	s_waitcnt lgkmcnt(3)
	v_pk_add_f32 v[100:101], v[6:7], v[14:15]
	v_pk_add_f32 v[96:97], v[4:5], v[12:13]
	;; [unrolled: 1-line block ×6, first 2 shown]
	s_waitcnt lgkmcnt(2)
	v_pk_add_f32 v[94:95], v[10:11], v[54:55]
	v_pk_add_f32 v[92:93], v[8:9], v[52:53]
	s_waitcnt lgkmcnt(0)
	v_pk_add_f32 v[110:111], v[58:59], v[62:63]
	v_pk_add_f32 v[108:109], v[56:57], v[60:61]
	s_addc_u32 s1, s31, s1
	s_mov_b32 s35, s34
	v_pk_add_f32 v[66:67], v[82:83], v[86:87]
	v_pk_add_f32 v[64:65], v[80:81], v[84:85]
	;; [unrolled: 1-line block ×8, first 2 shown]
	s_and_saveexec_b64 s[2:3], s[12:13]
	s_cbranch_execz .LBB24_18
; %bb.17:
	v_pk_add_f32 v[114:115], v[74:75], v[66:67]
	v_pk_add_f32 v[116:117], v[70:71], v[64:65]
	s_mov_b32 s12, s34
	s_mov_b32 s13, s34
	v_pk_mul_f32 v[114:115], s[12:13], v[114:115]
	v_pk_mul_f32 v[116:117], s[34:35], v[116:117]
	v_cvt_pk_f16_f32 v115, v114, v115
	v_cvt_pk_f16_f32 v114, v116, v117
	v_pk_add_f32 v[116:117], v[78:79], v[72:73]
	v_pk_add_f32 v[118:119], v[76:77], v[68:69]
	v_pk_mul_f32 v[116:117], s[12:13], v[116:117]
	v_pk_mul_f32 v[118:119], s[34:35], v[118:119]
	v_cvt_pk_f16_f32 v117, v116, v117
	v_cvt_pk_f16_f32 v116, v118, v119
	global_store_dwordx4 v112, v[114:117], s[0:1]
.LBB24_18:
	s_or_b64 exec, exec, s[2:3]
	v_sub_f32_e32 v43, v35, v43
	v_sub_f32_e32 v42, v34, v42
	v_sub_f32_e32 v35, v33, v41
	v_sub_f32_e32 v34, v32, v40
	v_sub_f32_e32 v33, v39, v47
	v_sub_f32_e32 v32, v38, v46
	v_sub_f32_e32 v113, v37, v45
	v_sub_f32_e32 v112, v36, v44
	v_sub_f32_e32 v37, v3, v27
	v_sub_f32_e32 v36, v2, v26
	v_sub_f32_e32 v39, v1, v25
	v_sub_f32_e32 v38, v0, v24
	v_sub_f32_e32 v117, v19, v31
	v_sub_f32_e32 v116, v18, v30
	v_sub_f32_e32 v115, v17, v29
	v_sub_f32_e32 v114, v16, v28
	v_sub_f32_e32 v51, v23, v51
	v_sub_f32_e32 v50, v22, v50
	v_sub_f32_e32 v47, v21, v49
	v_sub_f32_e32 v46, v20, v48
	v_sub_f32_e32 v45, v11, v55
	v_sub_f32_e32 v44, v10, v54
	v_sub_f32_e32 v41, v9, v53
	v_sub_f32_e32 v40, v8, v52
	v_sub_f32_e32 v119, v7, v15
	v_sub_f32_e32 v118, v6, v14
	v_sub_f32_e32 v55, v5, v13
	v_sub_f32_e32 v54, v4, v12
	v_sub_f32_e32 v53, v59, v63
	v_sub_f32_e32 v52, v58, v62
	v_sub_f32_e32 v49, v57, v61
	v_sub_f32_e32 v48, v56, v60
	v_pk_add_f32 v[0:1], v[42:43], v[32:33]
	v_pk_add_f32 v[2:3], v[34:35], v[112:113]
	;; [unrolled: 1-line block ×8, first 2 shown]
	s_and_saveexec_b64 s[2:3], s[8:9]
	s_cbranch_execz .LBB24_20
; %bb.19:
	v_pk_add_f32 v[16:17], v[6:7], v[0:1]
	v_pk_add_f32 v[18:19], v[10:11], v[2:3]
	s_mov_b32 s8, s34
	s_mov_b32 s9, s34
	v_pk_mul_f32 v[16:17], s[8:9], v[16:17]
	v_pk_mul_f32 v[18:19], s[34:35], v[18:19]
	v_cvt_pk_f16_f32 v17, v16, v17
	v_cvt_pk_f16_f32 v16, v18, v19
	v_pk_add_f32 v[18:19], v[12:13], v[4:5]
	v_pk_add_f32 v[20:21], v[14:15], v[8:9]
	v_pk_mul_f32 v[18:19], s[8:9], v[18:19]
	v_pk_mul_f32 v[20:21], s[34:35], v[20:21]
	v_cvt_pk_f16_f32 v19, v18, v19
	v_cvt_pk_f16_f32 v18, v20, v21
	global_store_dwordx4 v126, v[16:19], s[0:1]
.LBB24_20:
	s_or_b64 exec, exec, s[2:3]
	v_sub_f32_e32 v21, v83, v87
	v_sub_f32_e32 v20, v82, v86
	;; [unrolled: 1-line block ×16, first 2 shown]
	s_and_saveexec_b64 s[2:3], s[28:29]
	s_cbranch_execz .LBB24_22
; %bb.21:
	v_pk_add_f32 v[56:57], v[20:21], v[28:29]
	v_pk_add_f32 v[58:59], v[22:23], v[30:31]
	s_mov_b32 s8, s34
	s_mov_b32 s9, s34
	v_pk_mul_f32 v[56:57], s[8:9], v[56:57]
	v_pk_mul_f32 v[58:59], s[34:35], v[58:59]
	v_cvt_pk_f16_f32 v57, v56, v57
	v_cvt_pk_f16_f32 v56, v58, v59
	v_pk_add_f32 v[58:59], v[16:17], v[24:25]
	v_pk_add_f32 v[60:61], v[18:19], v[26:27]
	v_pk_mul_f32 v[58:59], s[8:9], v[58:59]
	v_pk_mul_f32 v[60:61], s[34:35], v[60:61]
	v_cvt_pk_f16_f32 v59, v58, v59
	v_cvt_pk_f16_f32 v58, v60, v61
	global_store_dwordx4 v123, v[56:59], s[0:1]
.LBB24_22:
	s_or_b64 exec, exec, s[2:3]
	v_sub_f32_e32 v33, v43, v33
	v_sub_f32_e32 v32, v42, v32
	;; [unrolled: 1-line block ×16, first 2 shown]
	s_and_saveexec_b64 s[2:3], vcc
	s_cbranch_execnz .LBB24_28
; %bb.23:
	s_or_b64 exec, exec, s[2:3]
	s_and_saveexec_b64 s[2:3], s[26:27]
	s_cbranch_execnz .LBB24_29
.LBB24_24:
	s_or_b64 exec, exec, s[2:3]
	s_and_saveexec_b64 s[2:3], s[4:5]
	s_cbranch_execnz .LBB24_30
.LBB24_25:
	s_or_b64 exec, exec, s[2:3]
	s_and_saveexec_b64 s[2:3], s[6:7]
	s_cbranch_execnz .LBB24_31
.LBB24_26:
	s_or_b64 exec, exec, s[2:3]
	s_and_saveexec_b64 s[2:3], s[10:11]
	s_cbranch_execnz .LBB24_32
.LBB24_27:
	s_endpgm
.LBB24_28:
	v_pk_add_f32 v[48:49], v[32:33], v[42:43]
	v_pk_add_f32 v[50:51], v[34:35], v[46:47]
	s_mov_b32 s8, s34
	s_mov_b32 s9, s34
	v_pk_mul_f32 v[48:49], s[8:9], v[48:49]
	v_pk_mul_f32 v[50:51], s[34:35], v[50:51]
	v_cvt_pk_f16_f32 v49, v48, v49
	v_cvt_pk_f16_f32 v48, v50, v51
	v_pk_add_f32 v[50:51], v[36:37], v[44:45]
	v_pk_add_f32 v[52:53], v[38:39], v[40:41]
	v_pk_mul_f32 v[50:51], s[8:9], v[50:51]
	v_pk_mul_f32 v[52:53], s[34:35], v[52:53]
	v_cvt_pk_f16_f32 v51, v50, v51
	v_cvt_pk_f16_f32 v50, v52, v53
	global_store_dwordx4 v120, v[48:51], s[0:1]
	s_or_b64 exec, exec, s[2:3]
	s_and_saveexec_b64 s[2:3], s[26:27]
	s_cbranch_execz .LBB24_24
.LBB24_29:
	v_sub_f32_e32 v49, v67, v75
	v_sub_f32_e32 v48, v66, v74
	;; [unrolled: 1-line block ×4, first 2 shown]
	s_mov_b32 s8, s34
	s_mov_b32 s9, s34
	v_pk_mul_f32 v[50:51], s[34:35], v[50:51]
	v_pk_mul_f32 v[48:49], s[8:9], v[48:49]
	v_sub_f32_e32 v53, v69, v77
	v_cvt_pk_f16_f32 v49, v48, v49
	v_cvt_pk_f16_f32 v48, v50, v51
	v_sub_f32_e32 v51, v73, v79
	v_sub_f32_e32 v50, v72, v78
	;; [unrolled: 1-line block ×3, first 2 shown]
	v_pk_mul_f32 v[52:53], s[34:35], v[52:53]
	v_pk_mul_f32 v[50:51], s[8:9], v[50:51]
	s_nop 0
	v_cvt_pk_f16_f32 v51, v50, v51
	v_cvt_pk_f16_f32 v50, v52, v53
	global_store_dwordx4 v121, v[48:51], s[0:1]
	s_or_b64 exec, exec, s[2:3]
	s_and_saveexec_b64 s[2:3], s[4:5]
	s_cbranch_execz .LBB24_25
.LBB24_30:
	v_sub_f32_e32 v1, v1, v7
	v_sub_f32_e32 v0, v0, v6
	;; [unrolled: 1-line block ×4, first 2 shown]
	s_mov_b32 s4, s34
	s_mov_b32 s5, s34
	v_pk_mul_f32 v[2:3], s[34:35], v[2:3]
	v_pk_mul_f32 v[0:1], s[4:5], v[0:1]
	s_nop 0
	v_cvt_pk_f16_f32 v1, v0, v1
	v_cvt_pk_f16_f32 v0, v2, v3
	v_sub_f32_e32 v3, v5, v13
	v_sub_f32_e32 v2, v4, v12
	;; [unrolled: 1-line block ×4, first 2 shown]
	v_pk_mul_f32 v[4:5], s[34:35], v[4:5]
	v_pk_mul_f32 v[2:3], s[4:5], v[2:3]
	s_nop 0
	v_cvt_pk_f16_f32 v3, v2, v3
	v_cvt_pk_f16_f32 v2, v4, v5
	global_store_dwordx4 v122, v[0:3], s[0:1]
	s_or_b64 exec, exec, s[2:3]
	s_and_saveexec_b64 s[2:3], s[6:7]
	s_cbranch_execz .LBB24_26
.LBB24_31:
	v_sub_f32_e32 v1, v21, v29
	v_sub_f32_e32 v0, v20, v28
	;; [unrolled: 1-line block ×4, first 2 shown]
	s_mov_b32 s4, s34
	s_mov_b32 s5, s34
	v_pk_mul_f32 v[2:3], s[34:35], v[2:3]
	v_pk_mul_f32 v[0:1], s[4:5], v[0:1]
	v_sub_f32_e32 v5, v19, v27
	v_cvt_pk_f16_f32 v1, v0, v1
	v_cvt_pk_f16_f32 v0, v2, v3
	v_sub_f32_e32 v3, v17, v25
	v_sub_f32_e32 v2, v16, v24
	v_sub_f32_e32 v4, v18, v26
	v_pk_mul_f32 v[4:5], s[34:35], v[4:5]
	v_pk_mul_f32 v[2:3], s[4:5], v[2:3]
	s_nop 0
	v_cvt_pk_f16_f32 v3, v2, v3
	v_cvt_pk_f16_f32 v2, v4, v5
	global_store_dwordx4 v124, v[0:3], s[0:1]
	s_or_b64 exec, exec, s[2:3]
	s_and_saveexec_b64 s[2:3], s[10:11]
	s_cbranch_execz .LBB24_27
.LBB24_32:
	v_sub_f32_e32 v1, v33, v43
	v_sub_f32_e32 v0, v32, v42
	;; [unrolled: 1-line block ×4, first 2 shown]
	s_mov_b32 s2, s34
	s_mov_b32 s3, s34
	v_sub_f32_e32 v5, v37, v45
	v_sub_f32_e32 v4, v36, v44
	;; [unrolled: 1-line block ×4, first 2 shown]
	v_pk_mul_f32 v[2:3], s[34:35], v[2:3]
	v_pk_mul_f32 v[0:1], s[2:3], v[0:1]
	;; [unrolled: 1-line block ×3, first 2 shown]
	v_cvt_pk_f16_f32 v1, v0, v1
	v_cvt_pk_f16_f32 v0, v2, v3
	v_pk_mul_f32 v[2:3], s[2:3], v[4:5]
	s_nop 0
	v_cvt_pk_f16_f32 v3, v2, v3
	v_cvt_pk_f16_f32 v2, v6, v7
	global_store_dwordx4 v125, v[0:3], s[0:1]
	s_endpgm
	.section	.rodata,"a",@progbits
	.p2align	6, 0x0
	.amdhsa_kernel _Z30fast_hadamard_transform_kernelI37fast_hadamard_transform_kernel_traitsILi256ELi14E6__halfEEv18HadamardParamsBase
		.amdhsa_group_segment_fixed_size 0
		.amdhsa_private_segment_fixed_size 0
		.amdhsa_kernarg_size 312
		.amdhsa_user_sgpr_count 2
		.amdhsa_user_sgpr_dispatch_ptr 0
		.amdhsa_user_sgpr_queue_ptr 0
		.amdhsa_user_sgpr_kernarg_segment_ptr 1
		.amdhsa_user_sgpr_dispatch_id 0
		.amdhsa_user_sgpr_kernarg_preload_length 0
		.amdhsa_user_sgpr_kernarg_preload_offset 0
		.amdhsa_user_sgpr_private_segment_size 0
		.amdhsa_uses_dynamic_stack 0
		.amdhsa_enable_private_segment 0
		.amdhsa_system_sgpr_workgroup_id_x 1
		.amdhsa_system_sgpr_workgroup_id_y 0
		.amdhsa_system_sgpr_workgroup_id_z 0
		.amdhsa_system_sgpr_workgroup_info 0
		.amdhsa_system_vgpr_workitem_id 0
		.amdhsa_next_free_vgpr 127
		.amdhsa_next_free_sgpr 40
		.amdhsa_accum_offset 128
		.amdhsa_reserve_vcc 1
		.amdhsa_float_round_mode_32 0
		.amdhsa_float_round_mode_16_64 0
		.amdhsa_float_denorm_mode_32 3
		.amdhsa_float_denorm_mode_16_64 3
		.amdhsa_dx10_clamp 1
		.amdhsa_ieee_mode 1
		.amdhsa_fp16_overflow 0
		.amdhsa_tg_split 0
		.amdhsa_exception_fp_ieee_invalid_op 0
		.amdhsa_exception_fp_denorm_src 0
		.amdhsa_exception_fp_ieee_div_zero 0
		.amdhsa_exception_fp_ieee_overflow 0
		.amdhsa_exception_fp_ieee_underflow 0
		.amdhsa_exception_fp_ieee_inexact 0
		.amdhsa_exception_int_div_zero 0
	.end_amdhsa_kernel
	.section	.text._Z30fast_hadamard_transform_kernelI37fast_hadamard_transform_kernel_traitsILi256ELi14E6__halfEEv18HadamardParamsBase,"axG",@progbits,_Z30fast_hadamard_transform_kernelI37fast_hadamard_transform_kernel_traitsILi256ELi14E6__halfEEv18HadamardParamsBase,comdat
.Lfunc_end24:
	.size	_Z30fast_hadamard_transform_kernelI37fast_hadamard_transform_kernel_traitsILi256ELi14E6__halfEEv18HadamardParamsBase, .Lfunc_end24-_Z30fast_hadamard_transform_kernelI37fast_hadamard_transform_kernel_traitsILi256ELi14E6__halfEEv18HadamardParamsBase
                                        ; -- End function
	.set _Z30fast_hadamard_transform_kernelI37fast_hadamard_transform_kernel_traitsILi256ELi14E6__halfEEv18HadamardParamsBase.num_vgpr, 127
	.set _Z30fast_hadamard_transform_kernelI37fast_hadamard_transform_kernel_traitsILi256ELi14E6__halfEEv18HadamardParamsBase.num_agpr, 0
	.set _Z30fast_hadamard_transform_kernelI37fast_hadamard_transform_kernel_traitsILi256ELi14E6__halfEEv18HadamardParamsBase.numbered_sgpr, 40
	.set _Z30fast_hadamard_transform_kernelI37fast_hadamard_transform_kernel_traitsILi256ELi14E6__halfEEv18HadamardParamsBase.num_named_barrier, 0
	.set _Z30fast_hadamard_transform_kernelI37fast_hadamard_transform_kernel_traitsILi256ELi14E6__halfEEv18HadamardParamsBase.private_seg_size, 0
	.set _Z30fast_hadamard_transform_kernelI37fast_hadamard_transform_kernel_traitsILi256ELi14E6__halfEEv18HadamardParamsBase.uses_vcc, 1
	.set _Z30fast_hadamard_transform_kernelI37fast_hadamard_transform_kernel_traitsILi256ELi14E6__halfEEv18HadamardParamsBase.uses_flat_scratch, 0
	.set _Z30fast_hadamard_transform_kernelI37fast_hadamard_transform_kernel_traitsILi256ELi14E6__halfEEv18HadamardParamsBase.has_dyn_sized_stack, 0
	.set _Z30fast_hadamard_transform_kernelI37fast_hadamard_transform_kernel_traitsILi256ELi14E6__halfEEv18HadamardParamsBase.has_recursion, 0
	.set _Z30fast_hadamard_transform_kernelI37fast_hadamard_transform_kernel_traitsILi256ELi14E6__halfEEv18HadamardParamsBase.has_indirect_call, 0
	.section	.AMDGPU.csdata,"",@progbits
; Kernel info:
; codeLenInByte = 15696
; TotalNumSgprs: 46
; NumVgprs: 127
; NumAgprs: 0
; TotalNumVgprs: 127
; ScratchSize: 0
; MemoryBound: 0
; FloatMode: 240
; IeeeMode: 1
; LDSByteSize: 0 bytes/workgroup (compile time only)
; SGPRBlocks: 5
; VGPRBlocks: 15
; NumSGPRsForWavesPerEU: 46
; NumVGPRsForWavesPerEU: 127
; AccumOffset: 128
; Occupancy: 4
; WaveLimiterHint : 0
; COMPUTE_PGM_RSRC2:SCRATCH_EN: 0
; COMPUTE_PGM_RSRC2:USER_SGPR: 2
; COMPUTE_PGM_RSRC2:TRAP_HANDLER: 0
; COMPUTE_PGM_RSRC2:TGID_X_EN: 1
; COMPUTE_PGM_RSRC2:TGID_Y_EN: 0
; COMPUTE_PGM_RSRC2:TGID_Z_EN: 0
; COMPUTE_PGM_RSRC2:TIDIG_COMP_CNT: 0
; COMPUTE_PGM_RSRC3_GFX90A:ACCUM_OFFSET: 31
; COMPUTE_PGM_RSRC3_GFX90A:TG_SPLIT: 0
	.section	.text._Z30fast_hadamard_transform_kernelI37fast_hadamard_transform_kernel_traitsILi256ELi15E6__halfEEv18HadamardParamsBase,"axG",@progbits,_Z30fast_hadamard_transform_kernelI37fast_hadamard_transform_kernel_traitsILi256ELi15E6__halfEEv18HadamardParamsBase,comdat
	.protected	_Z30fast_hadamard_transform_kernelI37fast_hadamard_transform_kernel_traitsILi256ELi15E6__halfEEv18HadamardParamsBase ; -- Begin function _Z30fast_hadamard_transform_kernelI37fast_hadamard_transform_kernel_traitsILi256ELi15E6__halfEEv18HadamardParamsBase
	.globl	_Z30fast_hadamard_transform_kernelI37fast_hadamard_transform_kernel_traitsILi256ELi15E6__halfEEv18HadamardParamsBase
	.p2align	8
	.type	_Z30fast_hadamard_transform_kernelI37fast_hadamard_transform_kernel_traitsILi256ELi15E6__halfEEv18HadamardParamsBase,@function
_Z30fast_hadamard_transform_kernelI37fast_hadamard_transform_kernel_traitsILi256ELi15E6__halfEEv18HadamardParamsBase: ; @_Z30fast_hadamard_transform_kernelI37fast_hadamard_transform_kernel_traitsILi256ELi15E6__halfEEv18HadamardParamsBase
; %bb.0:
	s_load_dwordx4 s[52:55], s[0:1], 0x10
	s_load_dword s33, s[0:1], 0x4
	s_load_dwordx4 s[48:51], s[0:1], 0x28
	s_ashr_i32 s3, s2, 31
	s_load_dword s6, s[0:1], 0x44
	s_waitcnt lgkmcnt(0)
	s_mul_hi_u32 s4, s52, s2
	s_mul_i32 s5, s52, s3
	s_add_i32 s4, s4, s5
	s_mul_i32 s5, s53, s2
	s_add_i32 s5, s4, s5
	s_mul_i32 s4, s52, s2
	s_lshl_b64 s[4:5], s[4:5], 1
	s_add_u32 s30, s48, s4
	v_lshlrev_b32_e32 v1, 3, v0
	s_addc_u32 s31, s49, s5
	v_cmp_gt_u32_e64 s[28:29], s33, v1
	v_mov_b32_e32 v1, 0
	v_lshlrev_b32_e32 v128, 4, v0
	v_mov_b32_e32 v15, 0
	v_mov_b32_e32 v17, 0
	;; [unrolled: 1-line block ×8, first 2 shown]
	s_and_saveexec_b64 s[4:5], s[28:29]
	s_cbranch_execz .LBB25_2
; %bb.1:
	global_load_dwordx4 v[2:5], v128, s[30:31]
	s_waitcnt vmcnt(0)
	v_cvt_f32_f16_e32 v18, v2
	v_cvt_f32_f16_sdwa v20, v2 dst_sel:DWORD dst_unused:UNUSED_PAD src0_sel:WORD_1
	v_cvt_f32_f16_e32 v19, v3
	v_cvt_f32_f16_sdwa v21, v3 dst_sel:DWORD dst_unused:UNUSED_PAD src0_sel:WORD_1
	;; [unrolled: 2-line block ×4, first 2 shown]
.LBB25_2:
	s_or_b64 exec, exec, s[4:5]
	s_and_b32 s34, 0xffff, s6
	v_add_u32_e32 v2, s34, v0
	v_lshlrev_b32_e32 v3, 3, v2
	v_cmp_gt_u32_e64 s[26:27], s33, v3
	v_lshlrev_b32_e32 v3, 4, v2
	v_accvgpr_write_b32 a14, v3
	v_mov_b32_e32 v25, 0
	v_mov_b32_e32 v22, 0
	v_mov_b32_e32 v24, 0
	v_mov_b32_e32 v27, 0
	v_mov_b32_e32 v29, 0
	v_mov_b32_e32 v26, 0
	v_mov_b32_e32 v28, 0
	s_and_saveexec_b64 s[4:5], s[26:27]
	s_cbranch_execz .LBB25_4
; %bb.3:
	v_accvgpr_read_b32 v1, a14
	global_load_dwordx4 v[4:7], v1, s[30:31]
	s_waitcnt vmcnt(0)
	v_cvt_f32_f16_e32 v26, v4
	v_cvt_f32_f16_sdwa v28, v4 dst_sel:DWORD dst_unused:UNUSED_PAD src0_sel:WORD_1
	v_cvt_f32_f16_e32 v27, v5
	v_cvt_f32_f16_sdwa v29, v5 dst_sel:DWORD dst_unused:UNUSED_PAD src0_sel:WORD_1
	v_cvt_f32_f16_e32 v22, v6
	v_cvt_f32_f16_sdwa v24, v6 dst_sel:DWORD dst_unused:UNUSED_PAD src0_sel:WORD_1
	v_cvt_f32_f16_e32 v1, v7
	v_cvt_f32_f16_sdwa v25, v7 dst_sel:DWORD dst_unused:UNUSED_PAD src0_sel:WORD_1
.LBB25_4:
	s_or_b64 exec, exec, s[4:5]
	v_add_u32_e32 v2, s34, v2
	v_lshlrev_b32_e32 v3, 3, v2
	v_cmp_gt_u32_e64 s[24:25], s33, v3
	v_lshlrev_b32_e32 v3, 4, v2
	v_mov_b32_e32 v31, 0
	v_accvgpr_write_b32 a13, v3
	v_mov_b32_e32 v34, 0
	v_mov_b32_e32 v36, 0
	v_mov_b32_e32 v33, 0
	v_mov_b32_e32 v35, 0
	v_mov_b32_e32 v38, 0
	v_mov_b32_e32 v40, 0
	v_mov_b32_e32 v37, 0
	v_mov_b32_e32 v39, 0
	s_and_saveexec_b64 s[4:5], s[24:25]
	s_cbranch_execz .LBB25_6
; %bb.5:
	v_accvgpr_read_b32 v3, a13
	global_load_dwordx4 v[4:7], v3, s[30:31]
	s_waitcnt vmcnt(0)
	v_cvt_f32_f16_e32 v37, v4
	v_cvt_f32_f16_sdwa v39, v4 dst_sel:DWORD dst_unused:UNUSED_PAD src0_sel:WORD_1
	v_cvt_f32_f16_e32 v38, v5
	v_cvt_f32_f16_sdwa v40, v5 dst_sel:DWORD dst_unused:UNUSED_PAD src0_sel:WORD_1
	v_cvt_f32_f16_e32 v33, v6
	v_cvt_f32_f16_sdwa v35, v6 dst_sel:DWORD dst_unused:UNUSED_PAD src0_sel:WORD_1
	v_cvt_f32_f16_e32 v34, v7
	v_cvt_f32_f16_sdwa v36, v7 dst_sel:DWORD dst_unused:UNUSED_PAD src0_sel:WORD_1
.LBB25_6:
	s_or_b64 exec, exec, s[4:5]
	v_add_u32_e32 v2, s34, v2
	v_lshlrev_b32_e32 v3, 3, v2
	v_cmp_gt_u32_e64 s[20:21], s33, v3
	v_lshlrev_b32_e32 v3, 4, v2
	v_accvgpr_write_b32 a11, v3
	v_mov_b32_e32 v46, 0
	v_mov_b32_e32 v43, 0
	v_mov_b32_e32 v44, 0
	v_mov_b32_e32 v48, 0
	v_mov_b32_e32 v50, 0
	v_mov_b32_e32 v47, 0
	v_mov_b32_e32 v49, 0
	s_and_saveexec_b64 s[4:5], s[20:21]
	s_cbranch_execz .LBB25_8
; %bb.7:
	v_accvgpr_read_b32 v3, a11
	global_load_dwordx4 v[4:7], v3, s[30:31]
	s_waitcnt vmcnt(0)
	v_cvt_f32_f16_e32 v47, v4
	v_cvt_f32_f16_sdwa v49, v4 dst_sel:DWORD dst_unused:UNUSED_PAD src0_sel:WORD_1
	v_cvt_f32_f16_e32 v48, v5
	v_cvt_f32_f16_sdwa v50, v5 dst_sel:DWORD dst_unused:UNUSED_PAD src0_sel:WORD_1
	v_cvt_f32_f16_e32 v43, v6
	v_cvt_f32_f16_sdwa v44, v6 dst_sel:DWORD dst_unused:UNUSED_PAD src0_sel:WORD_1
	v_cvt_f32_f16_e32 v31, v7
	v_cvt_f32_f16_sdwa v46, v7 dst_sel:DWORD dst_unused:UNUSED_PAD src0_sel:WORD_1
.LBB25_8:
	s_or_b64 exec, exec, s[4:5]
	v_add_u32_e32 v2, s34, v2
	v_lshlrev_b32_e32 v3, 3, v2
	v_cmp_gt_u32_e64 s[14:15], s33, v3
	v_lshlrev_b32_e32 v3, 4, v2
	v_mov_b32_e32 v52, 0
	v_accvgpr_write_b32 a9, v3
	v_mov_b32_e32 v55, 0
	v_mov_b32_e32 v57, 0
	v_mov_b32_e32 v54, 0
	v_mov_b32_e32 v56, 0
	v_mov_b32_e32 v59, 0
	v_mov_b32_e32 v61, 0
	v_mov_b32_e32 v58, 0
	v_mov_b32_e32 v60, 0
	s_and_saveexec_b64 s[4:5], s[14:15]
	s_cbranch_execz .LBB25_10
; %bb.9:
	v_accvgpr_read_b32 v3, a9
	global_load_dwordx4 v[4:7], v3, s[30:31]
	s_waitcnt vmcnt(0)
	v_cvt_f32_f16_e32 v58, v4
	v_cvt_f32_f16_sdwa v60, v4 dst_sel:DWORD dst_unused:UNUSED_PAD src0_sel:WORD_1
	v_cvt_f32_f16_e32 v59, v5
	v_cvt_f32_f16_sdwa v61, v5 dst_sel:DWORD dst_unused:UNUSED_PAD src0_sel:WORD_1
	v_cvt_f32_f16_e32 v54, v6
	v_cvt_f32_f16_sdwa v56, v6 dst_sel:DWORD dst_unused:UNUSED_PAD src0_sel:WORD_1
	v_cvt_f32_f16_e32 v55, v7
	v_cvt_f32_f16_sdwa v57, v7 dst_sel:DWORD dst_unused:UNUSED_PAD src0_sel:WORD_1
.LBB25_10:
	s_or_b64 exec, exec, s[4:5]
	v_add_u32_e32 v2, s34, v2
	v_lshlrev_b32_e32 v3, 3, v2
	v_cmp_gt_u32_e64 s[8:9], s33, v3
	v_lshlrev_b32_e32 v3, 4, v2
	v_accvgpr_write_b32 a6, v3
	v_mov_b32_e32 v66, 0
	v_mov_b32_e32 v64, 0
	v_mov_b32_e32 v65, 0
	v_mov_b32_e32 v68, 0
	v_mov_b32_e32 v70, 0
	v_mov_b32_e32 v67, 0
	v_mov_b32_e32 v69, 0
	s_and_saveexec_b64 s[4:5], s[8:9]
	s_cbranch_execz .LBB25_12
; %bb.11:
	v_accvgpr_read_b32 v3, a6
	global_load_dwordx4 v[4:7], v3, s[30:31]
	s_waitcnt vmcnt(0)
	v_cvt_f32_f16_e32 v67, v4
	v_cvt_f32_f16_sdwa v69, v4 dst_sel:DWORD dst_unused:UNUSED_PAD src0_sel:WORD_1
	v_cvt_f32_f16_e32 v68, v5
	v_cvt_f32_f16_sdwa v70, v5 dst_sel:DWORD dst_unused:UNUSED_PAD src0_sel:WORD_1
	v_cvt_f32_f16_e32 v64, v6
	v_cvt_f32_f16_sdwa v65, v6 dst_sel:DWORD dst_unused:UNUSED_PAD src0_sel:WORD_1
	v_cvt_f32_f16_e32 v52, v7
	v_cvt_f32_f16_sdwa v66, v7 dst_sel:DWORD dst_unused:UNUSED_PAD src0_sel:WORD_1
.LBB25_12:
	s_or_b64 exec, exec, s[4:5]
	v_add_u32_e32 v2, s34, v2
	v_lshlrev_b32_e32 v3, 3, v2
	v_cmp_gt_u32_e64 s[46:47], s33, v3
	v_lshlrev_b32_e32 v3, 4, v2
	v_mov_b32_e32 v73, 0
	v_accvgpr_write_b32 a3, v3
	v_mov_b32_e32 v75, 0
	v_mov_b32_e32 v78, 0
	v_mov_b32_e32 v74, 0
	v_mov_b32_e32 v77, 0
	v_mov_b32_e32 v80, 0
	v_mov_b32_e32 v82, 0
	v_mov_b32_e32 v79, 0
	v_mov_b32_e32 v81, 0
	s_and_saveexec_b64 s[4:5], s[46:47]
	s_cbranch_execz .LBB25_14
; %bb.13:
	v_accvgpr_read_b32 v3, a3
	global_load_dwordx4 v[4:7], v3, s[30:31]
	s_waitcnt vmcnt(0)
	v_cvt_f32_f16_e32 v79, v4
	v_cvt_f32_f16_sdwa v81, v4 dst_sel:DWORD dst_unused:UNUSED_PAD src0_sel:WORD_1
	v_cvt_f32_f16_e32 v80, v5
	v_cvt_f32_f16_sdwa v82, v5 dst_sel:DWORD dst_unused:UNUSED_PAD src0_sel:WORD_1
	v_cvt_f32_f16_e32 v74, v6
	v_cvt_f32_f16_sdwa v77, v6 dst_sel:DWORD dst_unused:UNUSED_PAD src0_sel:WORD_1
	v_cvt_f32_f16_e32 v75, v7
	v_cvt_f32_f16_sdwa v78, v7 dst_sel:DWORD dst_unused:UNUSED_PAD src0_sel:WORD_1
.LBB25_14:
	s_or_b64 exec, exec, s[4:5]
	v_add_u32_e32 v2, s34, v2
	v_lshlrev_b32_e32 v3, 3, v2
	v_cmp_gt_u32_e32 vcc, s33, v3
	v_lshlrev_b32_e32 v3, 4, v2
	v_accvgpr_write_b32 a0, v3
	v_mov_b32_e32 v85, 0
	v_mov_b32_e32 v83, 0
	;; [unrolled: 1-line block ×7, first 2 shown]
	s_and_saveexec_b64 s[4:5], vcc
	s_cbranch_execz .LBB25_16
; %bb.15:
	v_accvgpr_read_b32 v3, a0
	global_load_dwordx4 v[4:7], v3, s[30:31]
	s_waitcnt vmcnt(0)
	v_cvt_f32_f16_e32 v86, v4
	v_cvt_f32_f16_sdwa v89, v4 dst_sel:DWORD dst_unused:UNUSED_PAD src0_sel:WORD_1
	v_cvt_f32_f16_e32 v87, v5
	v_cvt_f32_f16_sdwa v90, v5 dst_sel:DWORD dst_unused:UNUSED_PAD src0_sel:WORD_1
	;; [unrolled: 2-line block ×4, first 2 shown]
.LBB25_16:
	s_or_b64 exec, exec, s[4:5]
	v_add_u32_e32 v2, s34, v2
	v_lshlrev_b32_e32 v3, 3, v2
	v_cmp_gt_u32_e64 s[44:45], s33, v3
	v_lshlrev_b32_e32 v3, 4, v2
	v_mov_b32_e32 v93, 0
	v_accvgpr_write_b32 a1, v3
	v_mov_b32_e32 v96, 0
	v_mov_b32_e32 v98, 0
	;; [unrolled: 1-line block ×8, first 2 shown]
	s_and_saveexec_b64 s[4:5], s[44:45]
	s_cbranch_execz .LBB25_18
; %bb.17:
	v_accvgpr_read_b32 v3, a1
	global_load_dwordx4 v[4:7], v3, s[30:31]
	s_waitcnt vmcnt(0)
	v_cvt_f32_f16_e32 v99, v4
	v_cvt_f32_f16_sdwa v101, v4 dst_sel:DWORD dst_unused:UNUSED_PAD src0_sel:WORD_1
	v_cvt_f32_f16_e32 v100, v5
	v_cvt_f32_f16_sdwa v102, v5 dst_sel:DWORD dst_unused:UNUSED_PAD src0_sel:WORD_1
	;; [unrolled: 2-line block ×4, first 2 shown]
.LBB25_18:
	s_or_b64 exec, exec, s[4:5]
	v_add_u32_e32 v2, s34, v2
	v_lshlrev_b32_e32 v3, 3, v2
	v_cmp_gt_u32_e64 s[4:5], s33, v3
	v_lshlrev_b32_e32 v3, 4, v2
	v_accvgpr_write_b32 a2, v3
	v_mov_b32_e32 v107, 0
	v_mov_b32_e32 v105, 0
	;; [unrolled: 1-line block ×7, first 2 shown]
	s_and_saveexec_b64 s[6:7], s[4:5]
	s_cbranch_execz .LBB25_20
; %bb.19:
	v_accvgpr_read_b32 v3, a2
	global_load_dwordx4 v[4:7], v3, s[30:31]
	s_waitcnt vmcnt(0)
	v_cvt_f32_f16_e32 v108, v4
	v_cvt_f32_f16_sdwa v110, v4 dst_sel:DWORD dst_unused:UNUSED_PAD src0_sel:WORD_1
	v_cvt_f32_f16_e32 v109, v5
	v_cvt_f32_f16_sdwa v111, v5 dst_sel:DWORD dst_unused:UNUSED_PAD src0_sel:WORD_1
	;; [unrolled: 2-line block ×4, first 2 shown]
.LBB25_20:
	s_or_b64 exec, exec, s[6:7]
	v_add_u32_e32 v2, s34, v2
	v_lshlrev_b32_e32 v3, 3, v2
	v_cmp_gt_u32_e64 s[6:7], s33, v3
	v_lshlrev_b32_e32 v3, 4, v2
	v_mov_b32_e32 v115, 0
	v_accvgpr_write_b32 a4, v3
	v_mov_b32_e32 v117, 0
	v_mov_b32_e32 v119, 0
	;; [unrolled: 1-line block ×8, first 2 shown]
	s_and_saveexec_b64 s[10:11], s[6:7]
	s_cbranch_execz .LBB25_22
; %bb.21:
	v_accvgpr_read_b32 v3, a4
	global_load_dwordx4 v[4:7], v3, s[30:31]
	s_waitcnt vmcnt(0)
	v_cvt_f32_f16_e32 v120, v4
	v_cvt_f32_f16_sdwa v122, v4 dst_sel:DWORD dst_unused:UNUSED_PAD src0_sel:WORD_1
	v_cvt_f32_f16_e32 v121, v5
	v_cvt_f32_f16_sdwa v123, v5 dst_sel:DWORD dst_unused:UNUSED_PAD src0_sel:WORD_1
	;; [unrolled: 2-line block ×4, first 2 shown]
.LBB25_22:
	s_or_b64 exec, exec, s[10:11]
	v_add_u32_e32 v2, s34, v2
	v_lshlrev_b32_e32 v3, 3, v2
	v_cmp_gt_u32_e64 s[10:11], s33, v3
	v_lshlrev_b32_e32 v3, 4, v2
	v_accvgpr_write_b32 a5, v3
	v_mov_b32_e32 v126, 0
	v_mov_b32_e32 v124, 0
	;; [unrolled: 1-line block ×7, first 2 shown]
	s_and_saveexec_b64 s[12:13], s[10:11]
	s_cbranch_execz .LBB25_24
; %bb.23:
	v_accvgpr_read_b32 v3, a5
	global_load_dwordx4 v[4:7], v3, s[30:31]
	s_waitcnt vmcnt(0)
	v_cvt_f32_f16_e32 v127, v4
	v_cvt_f32_f16_sdwa v130, v4 dst_sel:DWORD dst_unused:UNUSED_PAD src0_sel:WORD_1
	v_cvt_f32_f16_e32 v129, v5
	v_cvt_f32_f16_sdwa v131, v5 dst_sel:DWORD dst_unused:UNUSED_PAD src0_sel:WORD_1
	;; [unrolled: 2-line block ×4, first 2 shown]
.LBB25_24:
	s_or_b64 exec, exec, s[12:13]
	v_add_u32_e32 v6, s34, v2
	v_lshlrev_b32_e32 v2, 3, v6
	v_cmp_gt_u32_e64 s[12:13], s33, v2
	v_lshlrev_b32_e32 v2, 4, v6
	v_mov_b32_e32 v132, 0
	v_accvgpr_write_b32 a7, v2
	v_mov_b32_e32 v2, 0
	v_mov_b32_e32 v3, 0
	;; [unrolled: 1-line block ×8, first 2 shown]
	s_and_saveexec_b64 s[16:17], s[12:13]
	s_cbranch_execz .LBB25_26
; %bb.25:
	v_accvgpr_read_b32 v2, a7
	global_load_dwordx4 v[10:13], v2, s[30:31]
	s_waitcnt vmcnt(0)
	v_cvt_f32_f16_e32 v2, v10
	v_cvt_f32_f16_e32 v3, v11
	v_cvt_f32_f16_sdwa v4, v10 dst_sel:DWORD dst_unused:UNUSED_PAD src0_sel:WORD_1
	v_cvt_f32_f16_sdwa v5, v11 dst_sel:DWORD dst_unused:UNUSED_PAD src0_sel:WORD_1
	v_cvt_f32_f16_e32 v10, v12
	v_cvt_f32_f16_e32 v11, v13
	v_cvt_f32_f16_sdwa v12, v12 dst_sel:DWORD dst_unused:UNUSED_PAD src0_sel:WORD_1
	v_cvt_f32_f16_sdwa v13, v13 dst_sel:DWORD dst_unused:UNUSED_PAD src0_sel:WORD_1
.LBB25_26:
	s_or_b64 exec, exec, s[16:17]
	v_add_u32_e32 v62, s34, v6
	v_lshlrev_b32_e32 v6, 3, v62
	v_cmp_gt_u32_e64 s[16:17], s33, v6
	v_mov_b32_e32 v135, 0
	v_mov_b32_e32 v133, 0
	;; [unrolled: 1-line block ×7, first 2 shown]
	s_and_saveexec_b64 s[18:19], s[16:17]
	s_cbranch_execz .LBB25_28
; %bb.27:
	v_mov_b32_e32 v63, 0
	v_lshl_add_u64 v[6:7], v[62:63], 4, s[30:31]
	global_load_dwordx4 v[6:9], v[6:7], off
	s_waitcnt vmcnt(0)
	v_cvt_f32_f16_e32 v136, v6
	v_cvt_f32_f16_sdwa v138, v6 dst_sel:DWORD dst_unused:UNUSED_PAD src0_sel:WORD_1
	v_cvt_f32_f16_e32 v137, v7
	v_cvt_f32_f16_sdwa v139, v7 dst_sel:DWORD dst_unused:UNUSED_PAD src0_sel:WORD_1
	;; [unrolled: 2-line block ×4, first 2 shown]
.LBB25_28:
	s_or_b64 exec, exec, s[18:19]
	v_accvgpr_write_b32 a8, v62
	v_add_u32_e32 v62, s34, v62
	v_lshlrev_b32_e32 v6, 3, v62
	v_cmp_gt_u32_e64 s[18:19], s33, v6
	v_mov_b32_e32 v140, 0
	v_mov_b32_e32 v142, 0
	;; [unrolled: 1-line block ×9, first 2 shown]
	s_and_saveexec_b64 s[22:23], s[18:19]
	s_cbranch_execz .LBB25_30
; %bb.29:
	v_mov_b32_e32 v63, 0
	v_lshl_add_u64 v[6:7], v[62:63], 4, s[30:31]
	global_load_dwordx4 v[6:9], v[6:7], off
	s_waitcnt vmcnt(0)
	v_cvt_f32_f16_e32 v145, v6
	v_cvt_f32_f16_sdwa v147, v6 dst_sel:DWORD dst_unused:UNUSED_PAD src0_sel:WORD_1
	v_cvt_f32_f16_e32 v146, v7
	v_cvt_f32_f16_sdwa v148, v7 dst_sel:DWORD dst_unused:UNUSED_PAD src0_sel:WORD_1
	;; [unrolled: 2-line block ×4, first 2 shown]
.LBB25_30:
	s_or_b64 exec, exec, s[22:23]
	s_load_dword s48, s[0:1], 0x20
	v_add_u32_e32 v6, s34, v62
	v_accvgpr_write_b32 a12, v6
	v_lshlrev_b32_e32 v6, 3, v6
	v_accvgpr_write_b32 a10, v62
	v_cmp_gt_u32_e64 s[22:23], s33, v6
	v_mov_b32_e32 v151, 0
	v_mov_b32_e32 v149, 0
	;; [unrolled: 1-line block ×7, first 2 shown]
	s_and_saveexec_b64 s[0:1], s[22:23]
	s_cbranch_execz .LBB25_32
; %bb.31:
	v_accvgpr_read_b32 v6, a12
	v_mov_b32_e32 v7, 0
	v_lshl_add_u64 v[6:7], v[6:7], 4, s[30:31]
	global_load_dwordx4 v[6:9], v[6:7], off
	s_waitcnt vmcnt(0)
	v_cvt_f32_f16_e32 v152, v6
	v_cvt_f32_f16_sdwa v154, v6 dst_sel:DWORD dst_unused:UNUSED_PAD src0_sel:WORD_1
	v_cvt_f32_f16_e32 v153, v7
	v_cvt_f32_f16_sdwa v155, v7 dst_sel:DWORD dst_unused:UNUSED_PAD src0_sel:WORD_1
	;; [unrolled: 2-line block ×4, first 2 shown]
.LBB25_32:
	s_or_b64 exec, exec, s[0:1]
	v_add_f32_e32 v156, v18, v20
	v_add_f32_e32 v157, v19, v21
	;; [unrolled: 1-line block ×4, first 2 shown]
	v_pk_add_f32 v[6:7], v[4:5], v[2:3]
	v_pk_add_f32 v[2:3], v[2:3], v[4:5] neg_lo:[0,1] neg_hi:[0,1]
	v_pk_add_f32 v[8:9], v[10:11], v[12:13]
	v_pk_add_f32 v[4:5], v[10:11], v[12:13] neg_lo:[0,1] neg_hi:[0,1]
	v_add_f32_e32 v10, v157, v156
	v_add_f32_e32 v11, v159, v158
	v_add_f32_e32 v162, v26, v28
	v_add_f32_e32 v163, v27, v29
	v_add_f32_e32 v164, v22, v24
	v_add_f32_e32 v165, v1, v25
	v_add_f32_e32 v160, v11, v10
	v_sub_f32_e32 v161, v10, v11
	v_add_f32_e32 v10, v163, v162
	v_add_f32_e32 v11, v165, v164
	v_add_f32_e32 v168, v37, v39
	v_add_f32_e32 v169, v38, v40
	v_add_f32_e32 v170, v33, v35
	v_add_f32_e32 v171, v34, v36
	v_add_f32_e32 v166, v11, v10
	v_sub_f32_e32 v167, v10, v11
	;; [unrolled: 8-line block ×7, first 2 shown]
	v_add_f32_e32 v10, v192, v191
	v_add_f32_e32 v11, v194, v193
	;; [unrolled: 1-line block ×6, first 2 shown]
	v_sub_f32_e32 v223, v19, v21
	v_sub_f32_e32 v224, v18, v20
	v_sub_f32_e32 v225, v15, v17
	v_sub_f32_e32 v226, v14, v16
	v_add_f32_e32 v92, v11, v10
	v_sub_f32_e32 v76, v10, v11
	v_add_f32_e32 v10, v196, v195
	v_add_f32_e32 v11, v198, v197
	;; [unrolled: 1-line block ×8, first 2 shown]
	v_sub_f32_e32 v27, v27, v29
	v_sub_f32_e32 v26, v26, v28
	;; [unrolled: 1-line block ×4, first 2 shown]
	v_add_f32_e32 v72, v11, v10
	v_sub_f32_e32 v71, v10, v11
	v_add_f32_e32 v10, v200, v199
	v_add_f32_e32 v11, v202, v201
	v_add_f32_e32 v203, v122, v120
	v_add_f32_e32 v204, v123, v121
	v_add_f32_e32 v205, v114, v118
	v_add_f32_e32 v206, v117, v119
	v_add_f32_e32 v227, v15, v14
	v_sub_f32_e32 v228, v14, v15
	v_add_f32_e32 v14, v26, v27
	v_add_f32_e32 v15, v24, v1
	v_sub_f32_e32 v25, v38, v40
	v_sub_f32_e32 v28, v37, v39
	;; [unrolled: 1-line block ×4, first 2 shown]
	v_add_f32_e32 v63, v11, v10
	v_sub_f32_e32 v62, v10, v11
	v_add_f32_e32 v10, v204, v203
	v_add_f32_e32 v11, v206, v205
	v_add_f32_e32 v207, v130, v127
	v_add_f32_e32 v208, v131, v129
	v_add_f32_e32 v209, v124, v125
	v_add_f32_e32 v210, v115, v126
	v_add_f32_e32 v229, v15, v14
	v_sub_f32_e32 v230, v14, v15
	v_add_f32_e32 v14, v28, v25
	v_add_f32_e32 v15, v33, v29
	v_sub_f32_e32 v34, v48, v50
	v_sub_f32_e32 v35, v47, v49
	;; [unrolled: 1-line block ×4, first 2 shown]
	v_add_f32_e32 v53, v11, v10
	v_sub_f32_e32 v51, v10, v11
	v_add_f32_e32 v10, v208, v207
	v_add_f32_e32 v11, v210, v209
	v_add_f32_e32 v231, v15, v14
	v_sub_f32_e32 v232, v14, v15
	v_add_f32_e32 v14, v35, v34
	v_add_f32_e32 v15, v36, v31
	v_sub_f32_e32 v37, v59, v61
	v_sub_f32_e32 v38, v58, v60
	v_sub_f32_e32 v39, v55, v57
	v_sub_f32_e32 v40, v54, v56
	v_add_f32_e32 v45, v11, v10
	v_sub_f32_e32 v42, v10, v11
	v_add_f32_e32 v10, v7, v6
	v_add_f32_e32 v11, v9, v8
	v_add_f32_e32 v211, v138, v136
	v_add_f32_e32 v212, v139, v137
	v_add_f32_e32 v213, v133, v134
	v_add_f32_e32 v214, v132, v135
	v_add_f32_e32 v233, v15, v14
	v_sub_f32_e32 v234, v14, v15
	v_add_f32_e32 v14, v38, v37
	v_add_f32_e32 v15, v40, v39
	v_sub_f32_e32 v43, v68, v70
	v_sub_f32_e32 v44, v67, v69
	v_sub_f32_e32 v46, v52, v66
	v_sub_f32_e32 v47, v64, v65
	v_add_f32_e32 v41, v11, v10
	v_sub_f32_e32 v32, v10, v11
	v_add_f32_e32 v10, v212, v211
	v_add_f32_e32 v11, v214, v213
	v_add_f32_e32 v215, v147, v145
	v_add_f32_e32 v216, v148, v146
	v_add_f32_e32 v217, v141, v143
	v_add_f32_e32 v218, v142, v144
	v_add_f32_e32 v235, v15, v14
	v_sub_f32_e32 v236, v14, v15
	v_add_f32_e32 v14, v44, v43
	v_add_f32_e32 v15, v47, v46
	v_sub_f32_e32 v48, v80, v82
	v_sub_f32_e32 v49, v79, v81
	v_sub_f32_e32 v50, v75, v78
	v_sub_f32_e32 v52, v74, v77
	v_add_f32_e32 v30, v11, v10
	v_sub_f32_e32 v23, v10, v11
	v_add_f32_e32 v10, v216, v215
	v_add_f32_e32 v11, v218, v217
	v_add_f32_e32 v219, v154, v152
	v_add_f32_e32 v220, v155, v153
	v_add_f32_e32 v221, v150, v149
	v_add_f32_e32 v222, v140, v151
	;; [unrolled: 1-line block ×3, first 2 shown]
	v_sub_f32_e32 v238, v14, v15
	v_add_f32_e32 v14, v49, v48
	v_add_f32_e32 v15, v52, v50
	v_sub_f32_e32 v54, v87, v90
	v_sub_f32_e32 v55, v86, v89
	;; [unrolled: 1-line block ×4, first 2 shown]
	v_add_f32_e32 v13, v11, v10
	v_sub_f32_e32 v12, v10, v11
	v_add_f32_e32 v10, v220, v219
	v_add_f32_e32 v113, v222, v221
	;; [unrolled: 1-line block ×3, first 2 shown]
	v_sub_f32_e32 v240, v14, v15
	v_add_f32_e32 v14, v55, v54
	v_add_f32_e32 v15, v57, v56
	v_sub_f32_e32 v58, v100, v102
	v_sub_f32_e32 v59, v99, v101
	;; [unrolled: 1-line block ×4, first 2 shown]
	v_add_f32_e32 v11, v113, v10
	v_sub_f32_e32 v10, v10, v113
	v_add_f32_e32 v241, v15, v14
	v_sub_f32_e32 v113, v14, v15
	v_add_f32_e32 v14, v59, v58
	v_add_f32_e32 v15, v61, v60
	v_sub_f32_e32 v64, v109, v111
	v_sub_f32_e32 v65, v108, v110
	v_sub_f32_e32 v66, v93, v107
	v_sub_f32_e32 v67, v105, v106
	v_add_f32_e32 v99, v15, v14
	v_sub_f32_e32 v102, v14, v15
	v_add_f32_e32 v14, v65, v64
	v_add_f32_e32 v15, v67, v66
	v_sub_f32_e32 v68, v121, v123
	v_sub_f32_e32 v69, v120, v122
	v_sub_f32_e32 v70, v117, v119
	;; [unrolled: 8-line block ×3, first 2 shown]
	v_sub_f32_e32 v78, v124, v125
	v_add_f32_e32 v111, v15, v14
	v_sub_f32_e32 v114, v14, v15
	v_add_f32_e32 v14, v75, v74
	v_add_f32_e32 v15, v78, v77
	;; [unrolled: 1-line block ×3, first 2 shown]
	v_sub_f32_e32 v22, v14, v15
	v_add_f32_e32 v14, v2, v3
	v_add_f32_e32 v15, v4, v5
	v_sub_f32_e32 v79, v137, v139
	v_sub_f32_e32 v80, v136, v138
	v_sub_f32_e32 v81, v132, v135
	v_sub_f32_e32 v82, v133, v134
	v_add_f32_e32 v21, v15, v14
	v_sub_f32_e32 v20, v14, v15
	v_add_f32_e32 v14, v80, v79
	v_add_f32_e32 v15, v82, v81
	v_sub_f32_e32 v83, v146, v148
	v_sub_f32_e32 v84, v145, v147
	v_sub_f32_e32 v85, v142, v144
	v_sub_f32_e32 v86, v141, v143
	v_add_f32_e32 v19, v15, v14
	;; [unrolled: 8-line block ×3, first 2 shown]
	v_sub_f32_e32 v16, v14, v15
	v_add_f32_e32 v14, v89, v87
	v_add_f32_e32 v95, v93, v90
	;; [unrolled: 1-line block ×3, first 2 shown]
	v_sub_f32_e32 v14, v14, v95
	v_sub_f32_e32 v95, v158, v159
	;; [unrolled: 1-line block ×5, first 2 shown]
	v_add_f32_e32 v97, v96, v95
	v_sub_f32_e32 v95, v96, v95
	v_sub_f32_e32 v96, v164, v165
	v_sub_f32_e32 v98, v162, v163
	v_add_f32_e32 v146, v24, v1
	v_sub_f32_e32 v147, v24, v1
	v_sub_f32_e32 v1, v33, v29
	v_sub_f32_e32 v24, v28, v25
	;; [unrolled: 4-line block ×17, first 2 shown]
	v_sub_f32_e32 v8, v8, v9
	v_sub_f32_e32 v6, v6, v7
	v_add_f32_e32 v164, v24, v1
	v_sub_f32_e32 v165, v24, v1
	v_sub_f32_e32 v1, v73, v70
	;; [unrolled: 1-line block ×3, first 2 shown]
	v_add_f32_e32 v141, v118, v115
	v_sub_f32_e32 v142, v118, v115
	v_sub_f32_e32 v115, v205, v206
	;; [unrolled: 1-line block ×5, first 2 shown]
	v_add_f32_e32 v123, v6, v8
	v_sub_f32_e32 v122, v6, v8
	v_sub_f32_e32 v6, v213, v214
	;; [unrolled: 1-line block ×3, first 2 shown]
	v_add_f32_e32 v168, v24, v1
	v_sub_f32_e32 v169, v24, v1
	v_sub_f32_e32 v1, v78, v77
	v_sub_f32_e32 v24, v75, v74
	v_add_f32_e32 v143, v118, v115
	v_sub_f32_e32 v115, v118, v115
	v_add_f32_e32 v118, v121, v120
	v_sub_f32_e32 v130, v121, v120
	;; [unrolled: 2-line block ×3, first 2 shown]
	v_sub_f32_e32 v6, v217, v218
	v_sub_f32_e32 v7, v215, v216
	v_add_f32_e32 v170, v24, v1
	v_sub_f32_e32 v171, v24, v1
	v_sub_f32_e32 v1, v4, v5
	v_sub_f32_e32 v2, v2, v3
	v_add_f32_e32 v9, v7, v6
	v_sub_f32_e32 v8, v7, v6
	v_sub_f32_e32 v6, v221, v222
	v_sub_f32_e32 v124, v219, v220
	v_add_f32_e32 v133, v2, v1
	v_sub_f32_e32 v132, v2, v1
	v_sub_f32_e32 v1, v82, v81
	v_sub_f32_e32 v2, v80, v79
	v_add_f32_e32 v7, v124, v6
	v_sub_f32_e32 v6, v124, v6
	v_sub_f32_e32 v124, v226, v225
	v_sub_f32_e32 v125, v224, v223
	v_add_f32_e32 v131, v2, v1
	v_sub_f32_e32 v127, v2, v1
	v_sub_f32_e32 v1, v86, v85
	v_sub_f32_e32 v2, v84, v83
	v_add_f32_e32 v144, v125, v124
	v_sub_f32_e32 v145, v125, v124
	v_add_f32_e32 v124, v2, v1
	v_sub_f32_e32 v125, v2, v1
	v_sub_f32_e32 v1, v93, v90
	;; [unrolled: 1-line block ×3, first 2 shown]
	v_add_f32_e32 v126, v2, v1
	v_sub_f32_e32 v3, v2, v1
	v_mbcnt_lo_u32_b32 v1, -1, 0
	v_mbcnt_hi_u32_b32 v1, -1, v1
	v_and_b32_e32 v2, 64, v1
	v_add_u32_e32 v2, 64, v2
	v_xor_b32_e32 v4, 1, v1
	v_cmp_lt_i32_e64 s[0:1], v4, v2
	v_and_b32_e32 v5, 1, v0
	v_cmp_eq_u32_e64 s[30:31], 0, v5
	v_cndmask_b32_e64 v4, v1, v4, s[0:1]
	v_lshlrev_b32_e32 v129, 2, v4
	ds_bpermute_b32 v4, v129, v160
	ds_bpermute_b32 v25, v129, v227
	v_cndmask_b32_e64 v5, -v160, v160, s[30:31]
	v_cndmask_b32_e64 v26, -v97, v97, s[30:31]
	;; [unrolled: 1-line block ×3, first 2 shown]
	s_waitcnt lgkmcnt(0)
	v_add_f32_e32 v24, v5, v4
	ds_bpermute_b32 v4, v129, v97
	v_cndmask_b32_e64 v5, -v227, v227, s[30:31]
	v_add_f32_e32 v25, v5, v25
	ds_bpermute_b32 v5, v129, v144
	v_cndmask_b32_e64 v28, -v161, v161, s[30:31]
	s_waitcnt lgkmcnt(1)
	v_add_f32_e32 v26, v26, v4
	ds_bpermute_b32 v4, v129, v161
	v_cndmask_b32_e64 v29, -v228, v228, s[30:31]
	s_waitcnt lgkmcnt(1)
	;; [unrolled: 4-line block ×88, first 2 shown]
	v_add_f32_e32 v117, v117, v5
	ds_bpermute_b32 v5, v129, v170
	ds_bpermute_b32 v134, v129, v171
	s_waitcnt lgkmcnt(2)
	v_add_f32_e32 v118, v118, v4
	ds_bpermute_b32 v4, v129, v42
	ds_bpermute_b32 v135, v129, v21
	s_waitcnt lgkmcnt(3)
	v_add_f32_e32 v119, v119, v5
	v_cndmask_b32_e64 v5, -v42, v42, s[30:31]
	ds_bpermute_b32 v42, v129, v22
	s_waitcnt lgkmcnt(2)
	v_add_f32_e32 v5, v5, v4
	ds_bpermute_b32 v4, v129, v130
	v_cndmask_b32_e64 v22, -v22, v22, s[30:31]
	v_cndmask_b32_e64 v137, -v21, v21, s[30:31]
	s_waitcnt lgkmcnt(1)
	v_add_f32_e32 v42, v22, v42
	v_cndmask_b32_e64 v22, -v130, v130, s[30:31]
	s_waitcnt lgkmcnt(0)
	v_add_f32_e32 v22, v22, v4
	v_cndmask_b32_e64 v4, -v171, v171, s[30:31]
	ds_bpermute_b32 v21, v129, v32
	v_add_f32_e32 v4, v4, v134
	ds_bpermute_b32 v134, v129, v41
	v_cndmask_b32_e64 v136, -v41, v41, s[30:31]
	ds_bpermute_b32 v41, v129, v20
	v_cndmask_b32_e64 v32, -v32, v32, s[30:31]
	s_waitcnt lgkmcnt(2)
	v_add_f32_e32 v21, v32, v21
	ds_bpermute_b32 v32, v129, v122
	v_cndmask_b32_e64 v20, -v20, v20, s[30:31]
	s_waitcnt lgkmcnt(1)
	v_add_f32_e32 v20, v20, v41
	ds_bpermute_b32 v41, v129, v132
	v_cndmask_b32_e64 v122, -v122, v122, s[30:31]
	ds_bpermute_b32 v138, v129, v123
	v_cndmask_b32_e64 v140, -v123, v123, s[30:31]
	s_waitcnt lgkmcnt(2)
	v_add_f32_e32 v32, v122, v32
	ds_bpermute_b32 v122, v129, v30
	v_cndmask_b32_e64 v123, -v132, v132, s[30:31]
	s_waitcnt lgkmcnt(2)
	v_add_f32_e32 v41, v123, v41
	ds_bpermute_b32 v123, v129, v19
	v_cndmask_b32_e64 v30, -v30, v30, s[30:31]
	s_waitcnt lgkmcnt(1)
	v_add_f32_e32 v30, v30, v122
	ds_bpermute_b32 v122, v129, v121
	v_cndmask_b32_e64 v19, -v19, v19, s[30:31]
	s_waitcnt lgkmcnt(1)
	v_add_f32_e32 v19, v19, v123
	ds_bpermute_b32 v123, v129, v131
	ds_bpermute_b32 v130, v129, v23
	v_cndmask_b32_e64 v121, -v121, v121, s[30:31]
	s_waitcnt lgkmcnt(2)
	v_add_f32_e32 v121, v121, v122
	v_cndmask_b32_e64 v122, -v131, v131, s[30:31]
	v_cndmask_b32_e64 v23, -v23, v23, s[30:31]
	s_waitcnt lgkmcnt(1)
	v_add_f32_e32 v122, v122, v123
	ds_bpermute_b32 v123, v129, v18
	s_waitcnt lgkmcnt(1)
	v_add_f32_e32 v23, v23, v130
	ds_bpermute_b32 v130, v129, v120
	v_cndmask_b32_e64 v18, -v18, v18, s[30:31]
	v_cndmask_b32_e64 v120, -v120, v120, s[30:31]
	s_waitcnt lgkmcnt(1)
	v_add_f32_e32 v18, v18, v123
	ds_bpermute_b32 v123, v129, v127
	s_waitcnt lgkmcnt(1)
	v_add_f32_e32 v120, v120, v130
	ds_bpermute_b32 v130, v129, v13
	;; [unrolled: 8-line block ×9, first 2 shown]
	ds_bpermute_b32 v130, v129, v3
	v_cndmask_b32_e64 v6, -v6, v6, s[30:31]
	v_cndmask_b32_e64 v3, -v3, v3, s[30:31]
	;; [unrolled: 1-line block ×3, first 2 shown]
	s_waitcnt lgkmcnt(1)
	v_add_f32_e32 v6, v6, v10
	v_xor_b32_e32 v10, 2, v1
	v_cmp_lt_i32_e64 s[0:1], v10, v2
	s_waitcnt lgkmcnt(0)
	v_add_f32_e32 v3, v3, v130
	v_add_f32_e32 v131, v14, v131
	v_cndmask_b32_e64 v10, v1, v10, s[0:1]
	v_lshlrev_b32_e32 v130, 2, v10
	ds_bpermute_b32 v10, v130, v24
	v_and_b32_e32 v14, 2, v0
	v_cmp_eq_u32_e64 s[34:35], 0, v14
	ds_bpermute_b32 v132, v130, v25
	ds_bpermute_b32 v139, v129, v133
	v_cndmask_b32_e64 v14, -v24, v24, s[34:35]
	ds_bpermute_b32 v24, v130, v26
	s_waitcnt lgkmcnt(3)
	v_add_f32_e32 v10, v14, v10
	v_cndmask_b32_e64 v14, -v25, v25, s[34:35]
	ds_bpermute_b32 v25, v130, v27
	v_cndmask_b32_e64 v26, -v26, v26, s[34:35]
	s_waitcnt lgkmcnt(1)
	v_add_f32_e32 v24, v26, v24
	ds_bpermute_b32 v26, v130, v28
	v_cndmask_b32_e64 v27, -v27, v27, s[34:35]
	s_waitcnt lgkmcnt(1)
	v_add_f32_e32 v25, v27, v25
	;; [unrolled: 4-line block ×59, first 2 shown]
	v_cndmask_b32_e64 v94, -v96, v96, s[34:35]
	ds_bpermute_b32 v96, v130, v98
	v_add_f32_e32 v14, v14, v132
	ds_bpermute_b32 v132, v130, v97
	s_waitcnt lgkmcnt(2)
	v_add_f32_e32 v94, v94, v95
	v_cndmask_b32_e64 v95, -v97, v97, s[34:35]
	ds_bpermute_b32 v97, v130, v72
	v_cndmask_b32_e64 v98, -v98, v98, s[34:35]
	s_waitcnt lgkmcnt(2)
	v_add_f32_e32 v96, v98, v96
	ds_bpermute_b32 v98, v130, v99
	v_cndmask_b32_e64 v72, -v72, v72, s[34:35]
	s_waitcnt lgkmcnt(1)
	v_add_f32_e32 v72, v72, v97
	v_cndmask_b32_e64 v97, -v99, v99, s[34:35]
	ds_bpermute_b32 v99, v130, v101
	v_add_f32_e32 v95, v95, v132
	ds_bpermute_b32 v132, v130, v100
	s_waitcnt lgkmcnt(2)
	v_add_f32_e32 v97, v97, v98
	v_cndmask_b32_e64 v98, -v100, v100, s[34:35]
	ds_bpermute_b32 v100, v130, v71
	v_cndmask_b32_e64 v101, -v101, v101, s[34:35]
	s_waitcnt lgkmcnt(2)
	v_add_f32_e32 v99, v101, v99
	ds_bpermute_b32 v101, v130, v102
	v_cndmask_b32_e64 v71, -v71, v71, s[34:35]
	s_waitcnt lgkmcnt(1)
	v_add_f32_e32 v71, v71, v100
	v_cndmask_b32_e64 v100, -v102, v102, s[34:35]
	ds_bpermute_b32 v102, v130, v104
	v_add_f32_e32 v98, v98, v132
	ds_bpermute_b32 v132, v130, v103
	s_waitcnt lgkmcnt(2)
	v_add_f32_e32 v100, v100, v101
	v_cndmask_b32_e64 v101, -v103, v103, s[34:35]
	ds_bpermute_b32 v103, v130, v63
	v_cndmask_b32_e64 v104, -v104, v104, s[34:35]
	s_waitcnt lgkmcnt(2)
	v_add_f32_e32 v102, v104, v102
	ds_bpermute_b32 v104, v130, v105
	v_cndmask_b32_e64 v63, -v63, v63, s[34:35]
	s_waitcnt lgkmcnt(1)
	v_add_f32_e32 v63, v63, v103
	v_cndmask_b32_e64 v103, -v105, v105, s[34:35]
	ds_bpermute_b32 v105, v130, v107
	v_add_f32_e32 v101, v101, v132
	ds_bpermute_b32 v132, v130, v106
	s_waitcnt lgkmcnt(2)
	v_add_f32_e32 v103, v103, v104
	v_cndmask_b32_e64 v104, -v106, v106, s[34:35]
	ds_bpermute_b32 v106, v130, v62
	v_cndmask_b32_e64 v107, -v107, v107, s[34:35]
	s_waitcnt lgkmcnt(2)
	v_add_f32_e32 v105, v107, v105
	ds_bpermute_b32 v107, v130, v108
	v_cndmask_b32_e64 v62, -v62, v62, s[34:35]
	s_waitcnt lgkmcnt(1)
	v_add_f32_e32 v62, v62, v106
	v_cndmask_b32_e64 v106, -v108, v108, s[34:35]
	ds_bpermute_b32 v108, v130, v110
	v_add_f32_e32 v104, v104, v132
	ds_bpermute_b32 v132, v130, v109
	s_waitcnt lgkmcnt(2)
	v_add_f32_e32 v106, v106, v107
	v_cndmask_b32_e64 v107, -v109, v109, s[34:35]
	ds_bpermute_b32 v109, v130, v53
	v_cndmask_b32_e64 v110, -v110, v110, s[34:35]
	s_waitcnt lgkmcnt(2)
	v_add_f32_e32 v108, v110, v108
	ds_bpermute_b32 v110, v130, v111
	v_cndmask_b32_e64 v53, -v53, v53, s[34:35]
	s_waitcnt lgkmcnt(1)
	v_add_f32_e32 v53, v53, v109
	v_cndmask_b32_e64 v109, -v111, v111, s[34:35]
	ds_bpermute_b32 v111, v130, v113
	v_add_f32_e32 v107, v107, v132
	ds_bpermute_b32 v132, v130, v112
	s_waitcnt lgkmcnt(2)
	v_add_f32_e32 v109, v109, v110
	v_cndmask_b32_e64 v110, -v112, v112, s[34:35]
	ds_bpermute_b32 v112, v130, v51
	v_cndmask_b32_e64 v113, -v113, v113, s[34:35]
	s_waitcnt lgkmcnt(2)
	v_add_f32_e32 v111, v113, v111
	ds_bpermute_b32 v113, v130, v114
	v_cndmask_b32_e64 v51, -v51, v51, s[34:35]
	s_waitcnt lgkmcnt(1)
	v_add_f32_e32 v51, v51, v112
	v_cndmask_b32_e64 v112, -v114, v114, s[34:35]
	ds_bpermute_b32 v114, v130, v116
	v_add_f32_e32 v110, v110, v132
	ds_bpermute_b32 v132, v130, v115
	s_waitcnt lgkmcnt(2)
	v_add_f32_e32 v112, v112, v113
	v_cndmask_b32_e64 v113, -v115, v115, s[34:35]
	ds_bpermute_b32 v115, v130, v45
	v_cndmask_b32_e64 v116, -v116, v116, s[34:35]
	s_waitcnt lgkmcnt(2)
	v_add_f32_e32 v114, v116, v114
	ds_bpermute_b32 v116, v130, v117
	v_cndmask_b32_e64 v45, -v45, v45, s[34:35]
	s_waitcnt lgkmcnt(1)
	v_add_f32_e32 v45, v45, v115
	v_cndmask_b32_e64 v115, -v117, v117, s[34:35]
	ds_bpermute_b32 v117, v130, v119
	v_add_f32_e32 v113, v113, v132
	ds_bpermute_b32 v132, v130, v118
	s_waitcnt lgkmcnt(2)
	v_add_f32_e32 v115, v115, v116
	v_cndmask_b32_e64 v116, -v118, v118, s[34:35]
	ds_bpermute_b32 v118, v130, v5
	v_cndmask_b32_e64 v119, -v119, v119, s[34:35]
	s_waitcnt lgkmcnt(2)
	v_add_f32_e32 v117, v119, v117
	ds_bpermute_b32 v119, v130, v42
	v_cndmask_b32_e64 v5, -v5, v5, s[34:35]
	s_waitcnt lgkmcnt(1)
	v_add_f32_e32 v5, v5, v118
	ds_bpermute_b32 v118, v130, v22
	v_cndmask_b32_e64 v42, -v42, v42, s[34:35]
	s_waitcnt lgkmcnt(1)
	v_add_f32_e32 v42, v42, v119
	ds_bpermute_b32 v119, v130, v4
	v_cndmask_b32_e64 v22, -v22, v22, s[34:35]
	s_waitcnt lgkmcnt(1)
	v_add_f32_e32 v22, v22, v118
	;; [unrolled: 4-line block ×14, first 2 shown]
	v_cndmask_b32_e64 v121, -v123, v123, s[34:35]
	ds_bpermute_b32 v123, v130, v9
	s_waitcnt lgkmcnt(1)
	v_add_f32_e32 v121, v121, v122
	ds_bpermute_b32 v122, v130, v17
	v_cndmask_b32_e64 v17, -v17, v17, s[34:35]
	v_cndmask_b32_e64 v9, -v9, v9, s[34:35]
	s_waitcnt lgkmcnt(1)
	v_add_f32_e32 v9, v9, v123
	ds_bpermute_b32 v123, v130, v12
	s_waitcnt lgkmcnt(1)
	v_add_f32_e32 v17, v17, v122
	ds_bpermute_b32 v122, v130, v124
	v_cndmask_b32_e64 v124, -v124, v124, s[34:35]
	v_cndmask_b32_e64 v12, -v12, v12, s[34:35]
	s_waitcnt lgkmcnt(1)
	v_add_f32_e32 v12, v12, v123
	;; [unrolled: 8-line block ×3, first 2 shown]
	v_cndmask_b32_e64 v123, -v125, v125, s[34:35]
	s_waitcnt lgkmcnt(0)
	v_add_f32_e32 v16, v16, v124
	ds_bpermute_b32 v124, v130, v125
	ds_bpermute_b32 v125, v130, v7
	v_add_f32_e32 v116, v116, v132
	ds_bpermute_b32 v132, v130, v13
	v_cndmask_b32_e64 v7, -v7, v7, s[34:35]
	s_waitcnt lgkmcnt(2)
	v_add_f32_e32 v123, v123, v124
	ds_bpermute_b32 v124, v130, v15
	v_cndmask_b32_e64 v15, -v15, v15, s[34:35]
	s_waitcnt lgkmcnt(2)
	;; [unrolled: 4-line block ×3, first 2 shown]
	v_add_f32_e32 v15, v15, v124
	ds_bpermute_b32 v124, v130, v126
	v_cndmask_b32_e64 v126, -v126, v126, s[34:35]
	v_add_f32_e32 v13, v13, v132
	ds_bpermute_b32 v132, v130, v11
	v_cndmask_b32_e64 v11, -v11, v11, s[34:35]
	s_waitcnt lgkmcnt(1)
	v_add_f32_e32 v124, v126, v124
	v_cndmask_b32_e64 v126, -v127, v127, s[34:35]
	ds_bpermute_b32 v127, v130, v131
	v_add_f32_e32 v125, v126, v125
	v_cndmask_b32_e64 v126, -v131, v131, s[34:35]
	ds_bpermute_b32 v131, v130, v3
	s_waitcnt lgkmcnt(2)
	v_add_f32_e32 v11, v11, v132
	s_waitcnt lgkmcnt(1)
	v_add_f32_e32 v126, v126, v127
	v_xor_b32_e32 v127, 4, v1
	ds_bpermute_b32 v132, v130, v6
	v_cmp_lt_i32_e64 s[0:1], v127, v2
	v_cndmask_b32_e64 v3, -v3, v3, s[34:35]
	s_waitcnt lgkmcnt(1)
	v_add_f32_e32 v3, v3, v131
	v_cndmask_b32_e64 v127, v1, v127, s[0:1]
	v_lshlrev_b32_e32 v131, 2, v127
	ds_bpermute_b32 v127, v131, v10
	v_cndmask_b32_e64 v6, -v6, v6, s[34:35]
	s_waitcnt lgkmcnt(1)
	v_add_f32_e32 v6, v6, v132
	v_and_b32_e32 v132, 4, v0
	v_cmp_eq_u32_e64 s[36:37], 0, v132
	ds_bpermute_b32 v132, v131, v25
	v_cndmask_b32_e64 v141, -v133, v133, s[30:31]
	v_cndmask_b32_e64 v10, -v10, v10, s[36:37]
	s_waitcnt lgkmcnt(1)
	v_add_f32_e32 v10, v10, v127
	ds_bpermute_b32 v127, v131, v24
	v_cndmask_b32_e64 v24, -v24, v24, s[36:37]
	v_cndmask_b32_e64 v25, -v25, v25, s[36:37]
	s_waitcnt lgkmcnt(1)
	v_add_f32_e32 v25, v25, v132
	ds_bpermute_b32 v132, v131, v27
	s_waitcnt lgkmcnt(1)
	v_add_f32_e32 v24, v24, v127
	ds_bpermute_b32 v127, v131, v26
	v_cndmask_b32_e64 v26, -v26, v26, s[36:37]
	v_cndmask_b32_e64 v27, -v27, v27, s[36:37]
	s_waitcnt lgkmcnt(1)
	v_add_f32_e32 v27, v27, v132
	ds_bpermute_b32 v132, v131, v29
	;; [unrolled: 8-line block ×58, first 2 shown]
	s_waitcnt lgkmcnt(1)
	v_add_f32_e32 v11, v11, v127
	ds_bpermute_b32 v127, v131, v7
	v_cndmask_b32_e64 v7, -v7, v7, s[36:37]
	ds_bpermute_b32 v133, v131, v14
	v_cndmask_b32_e64 v124, -v124, v124, s[36:37]
	s_waitcnt lgkmcnt(2)
	v_add_f32_e32 v124, v124, v132
	s_waitcnt lgkmcnt(1)
	v_add_f32_e32 v7, v7, v127
	ds_bpermute_b32 v127, v131, v125
	v_cndmask_b32_e64 v125, -v125, v125, s[36:37]
	ds_bpermute_b32 v132, v131, v126
	v_cndmask_b32_e64 v14, -v14, v14, s[36:37]
	s_waitcnt lgkmcnt(2)
	v_add_f32_e32 v14, v14, v133
	;; [unrolled: 8-line block ×3, first 2 shown]
	s_waitcnt lgkmcnt(1)
	v_add_f32_e32 v6, v6, v127
	v_xor_b32_e32 v127, 8, v1
	v_cmp_lt_i32_e64 s[0:1], v127, v2
	v_cndmask_b32_e64 v3, -v3, v3, s[36:37]
	s_waitcnt lgkmcnt(0)
	v_add_f32_e32 v3, v3, v133
	v_cndmask_b32_e64 v127, v1, v127, s[0:1]
	v_lshlrev_b32_e32 v132, 2, v127
	ds_bpermute_b32 v127, v132, v10
	v_and_b32_e32 v133, 8, v0
	v_cmp_eq_u32_e64 s[38:39], 0, v133
	ds_bpermute_b32 v133, v132, v25
	ds_bpermute_b32 v142, v132, v14
	v_cndmask_b32_e64 v10, -v10, v10, s[38:39]
	s_waitcnt lgkmcnt(2)
	v_add_f32_e32 v10, v10, v127
	ds_bpermute_b32 v127, v132, v24
	v_cndmask_b32_e64 v24, -v24, v24, s[38:39]
	v_cndmask_b32_e64 v25, -v25, v25, s[38:39]
	s_waitcnt lgkmcnt(2)
	v_add_f32_e32 v25, v25, v133
	ds_bpermute_b32 v133, v132, v27
	s_waitcnt lgkmcnt(1)
	v_add_f32_e32 v24, v24, v127
	ds_bpermute_b32 v127, v132, v26
	v_cndmask_b32_e64 v26, -v26, v26, s[38:39]
	v_cndmask_b32_e64 v27, -v27, v27, s[38:39]
	s_waitcnt lgkmcnt(1)
	v_add_f32_e32 v27, v27, v133
	ds_bpermute_b32 v133, v132, v29
	;; [unrolled: 8-line block ×59, first 2 shown]
	s_waitcnt lgkmcnt(1)
	v_add_f32_e32 v7, v7, v127
	ds_bpermute_b32 v127, v132, v125
	v_cndmask_b32_e64 v125, -v125, v125, s[38:39]
	v_cndmask_b32_e64 v126, -v126, v126, s[38:39]
	s_waitcnt lgkmcnt(1)
	v_add_f32_e32 v183, v126, v133
	v_and_b32_e32 v126, 16, v0
	s_waitcnt lgkmcnt(0)
	v_add_f32_e32 v144, v125, v127
	ds_bpermute_b32 v125, v132, v6
	v_cndmask_b32_e64 v6, -v6, v6, s[38:39]
	v_cmp_eq_u32_e64 s[40:41], 0, v126
	ds_bpermute_b32 v127, v132, v3
	v_cndmask_b32_e64 v14, -v14, v14, s[38:39]
	s_waitcnt lgkmcnt(1)
	v_add_f32_e32 v6, v6, v125
	v_xor_b32_e32 v125, 16, v1
	v_cmp_lt_i32_e64 s[0:1], v125, v2
	v_add_f32_e32 v14, v14, v142
	v_cndmask_b32_e64 v3, -v3, v3, s[38:39]
	v_cndmask_b32_e64 v125, v1, v125, s[0:1]
	v_lshlrev_b32_e32 v133, 2, v125
	ds_bpermute_b32 v125, v133, v10
	v_cndmask_b32_e64 v10, -v10, v10, s[40:41]
	ds_bpermute_b32 v126, v133, v25
	v_cndmask_b32_e64 v25, -v25, v25, s[40:41]
	s_waitcnt lgkmcnt(2)
	v_add_f32_e32 v3, v3, v127
	s_waitcnt lgkmcnt(1)
	v_add_f32_e32 v10, v10, v125
	ds_bpermute_b32 v125, v133, v24
	v_cndmask_b32_e64 v24, -v24, v24, s[40:41]
	s_waitcnt lgkmcnt(1)
	v_add_f32_e32 v25, v25, v126
	ds_bpermute_b32 v126, v133, v27
	v_cndmask_b32_e64 v27, -v27, v27, s[40:41]
	;; [unrolled: 4-line block ×25, first 2 shown]
	s_waitcnt lgkmcnt(1)
	v_add_f32_e32 v56, v56, v126
	ds_bpermute_b32 v126, v133, v58
	ds_bpermute_b32 v127, v133, v14
	s_waitcnt lgkmcnt(2)
	v_add_f32_e32 v55, v55, v125
	ds_bpermute_b32 v125, v133, v57
	v_cndmask_b32_e64 v57, -v57, v57, s[40:41]
	v_cndmask_b32_e64 v58, -v58, v58, s[40:41]
	;; [unrolled: 1-line block ×3, first 2 shown]
	s_waitcnt lgkmcnt(2)
	v_add_f32_e32 v58, v58, v126
	s_waitcnt lgkmcnt(0)
	v_add_f32_e32 v57, v57, v125
	ds_bpermute_b32 v125, v133, v59
	ds_bpermute_b32 v126, v133, v60
	v_add_f32_e32 v14, v14, v127
	ds_bpermute_b32 v127, v133, v61
	v_cndmask_b32_e64 v59, -v59, v59, s[40:41]
	v_cndmask_b32_e64 v60, -v60, v60, s[40:41]
	s_waitcnt lgkmcnt(2)
	v_add_f32_e32 v59, v59, v125
	s_waitcnt lgkmcnt(1)
	v_add_f32_e32 v125, v60, v126
	ds_bpermute_b32 v60, v133, v64
	v_cndmask_b32_e64 v61, -v61, v61, s[40:41]
	s_waitcnt lgkmcnt(1)
	v_add_f32_e32 v126, v61, v127
	ds_bpermute_b32 v61, v133, v65
	v_cndmask_b32_e64 v64, -v64, v64, s[40:41]
	;; [unrolled: 4-line block ×58, first 2 shown]
	s_waitcnt lgkmcnt(1)
	v_add_f32_e32 v115, v53, v60
	v_cndmask_b32_e64 v60, -v116, v116, s[40:41]
	ds_bpermute_b32 v53, v133, v117
	s_waitcnt lgkmcnt(1)
	v_add_f32_e32 v116, v60, v45
	ds_bpermute_b32 v45, v133, v5
	v_cndmask_b32_e64 v5, -v5, v5, s[40:41]
	v_cndmask_b32_e64 v60, -v117, v117, s[40:41]
	s_waitcnt lgkmcnt(1)
	v_add_f32_e32 v117, v60, v53
	ds_bpermute_b32 v53, v133, v42
	s_waitcnt lgkmcnt(1)
	v_add_f32_e32 v160, v5, v45
	ds_bpermute_b32 v5, v133, v22
	ds_bpermute_b32 v45, v133, v4
	v_cndmask_b32_e64 v22, -v22, v22, s[40:41]
	v_cndmask_b32_e64 v4, -v4, v4, s[40:41]
	v_cndmask_b32_e64 v42, -v42, v42, s[40:41]
	s_waitcnt lgkmcnt(1)
	v_add_f32_e32 v161, v22, v5
	ds_bpermute_b32 v5, v133, v21
	s_waitcnt lgkmcnt(1)
	v_add_f32_e32 v162, v4, v45
	ds_bpermute_b32 v4, v133, v20
	v_cndmask_b32_e64 v21, -v21, v21, s[40:41]
	v_cndmask_b32_e64 v20, -v20, v20, s[40:41]
	s_waitcnt lgkmcnt(1)
	v_add_f32_e32 v163, v21, v5
	ds_bpermute_b32 v5, v133, v32
	s_waitcnt lgkmcnt(1)
	v_add_f32_e32 v164, v20, v4
	ds_bpermute_b32 v4, v133, v41
	v_cndmask_b32_e64 v20, -v32, v32, s[40:41]
	v_add_f32_e32 v42, v42, v53
	s_waitcnt lgkmcnt(1)
	v_add_f32_e32 v32, v20, v5
	ds_bpermute_b32 v5, v133, v30
	v_cndmask_b32_e64 v20, -v41, v41, s[40:41]
	s_waitcnt lgkmcnt(1)
	v_add_f32_e32 v41, v20, v4
	ds_bpermute_b32 v4, v133, v19
	v_cndmask_b32_e64 v20, -v30, v30, s[40:41]
	;; [unrolled: 4-line block ×20, first 2 shown]
	s_waitcnt lgkmcnt(1)
	v_add_f32_e32 v7, v7, v5
	ds_bpermute_b32 v5, v133, v144
	ds_bpermute_b32 v9, v133, v3
	v_cndmask_b32_e64 v8, -v124, v124, s[40:41]
	s_waitcnt lgkmcnt(2)
	v_add_f32_e32 v182, v8, v4
	v_cndmask_b32_e64 v4, -v144, v144, s[40:41]
	v_cndmask_b32_e64 v3, -v3, v3, s[40:41]
	ds_bpermute_b32 v8, v133, v183
	s_waitcnt lgkmcnt(2)
	v_add_f32_e32 v184, v4, v5
	v_cndmask_b32_e64 v5, -v183, v183, s[40:41]
	s_waitcnt lgkmcnt(1)
	v_add_f32_e32 v183, v3, v9
	v_xor_b32_e32 v3, 32, v1
	v_cmp_lt_i32_e64 s[0:1], v3, v2
	v_and_b32_e32 v2, 32, v0
	ds_bpermute_b32 v4, v133, v6
	v_cndmask_b32_e64 v1, v1, v3, s[0:1]
	v_lshlrev_b32_e32 v144, 2, v1
	ds_bpermute_b32 v1, v144, v10
	v_cmp_eq_u32_e64 s[42:43], 0, v2
	ds_bpermute_b32 v3, v144, v14
	s_waitcnt lgkmcnt(3)
	v_add_f32_e32 v185, v5, v8
	v_cndmask_b32_e64 v2, -v10, v10, s[42:43]
	s_waitcnt lgkmcnt(1)
	v_add_f32_e32 v2, v2, v1
	ds_bpermute_b32 v1, v144, v24
	v_cndmask_b32_e64 v5, -v6, v6, s[40:41]
	v_add_f32_e32 v6, v5, v4
	v_cndmask_b32_e64 v4, -v14, v14, s[42:43]
	s_waitcnt lgkmcnt(1)
	v_add_f32_e32 v3, v4, v3
	ds_bpermute_b32 v5, v144, v25
	v_cndmask_b32_e64 v4, -v24, v24, s[42:43]
	s_waitcnt lgkmcnt(1)
	v_add_f32_e32 v4, v4, v1
	ds_bpermute_b32 v1, v144, v26
	;; [unrolled: 4-line block ×114, first 2 shown]
	v_cndmask_b32_e64 v48, -v179, v179, s[42:43]
	s_waitcnt lgkmcnt(1)
	v_add_f32_e32 v43, v48, v43
	v_cndmask_b32_e64 v48, -v180, v180, s[42:43]
	ds_bpermute_b32 v49, v144, v181
	s_waitcnt lgkmcnt(1)
	v_add_f32_e32 v48, v48, v1
	ds_bpermute_b32 v1, v144, v7
	v_cndmask_b32_e64 v50, -v181, v181, s[42:43]
	ds_bpermute_b32 v51, v144, v182
	v_cndmask_b32_e64 v7, -v7, v7, s[42:43]
	s_waitcnt lgkmcnt(2)
	v_add_f32_e32 v49, v50, v49
	s_waitcnt lgkmcnt(1)
	v_add_f32_e32 v50, v7, v1
	ds_bpermute_b32 v1, v144, v184
	v_cndmask_b32_e64 v7, -v182, v182, s[42:43]
	s_waitcnt lgkmcnt(1)
	v_add_f32_e32 v51, v7, v51
	v_cndmask_b32_e64 v7, -v184, v184, s[42:43]
	ds_bpermute_b32 v59, v144, v183
	s_waitcnt lgkmcnt(1)
	v_add_f32_e32 v56, v7, v1
	ds_bpermute_b32 v1, v144, v6
	ds_bpermute_b32 v57, v144, v185
	v_cndmask_b32_e64 v6, -v6, v6, s[42:43]
	v_cndmask_b32_e64 v7, -v185, v185, s[42:43]
	s_waitcnt lgkmcnt(0)
	v_add_f32_e32 v58, v6, v1
	v_cndmask_b32_e64 v1, -v183, v183, s[42:43]
	v_add_f32_e32 v59, v1, v59
	v_lshrrev_b32_e32 v1, 6, v0
	v_add_f32_e32 v57, v7, v57
	v_and_b32_e32 v6, 3, v0
	v_lshrrev_b32_e32 v7, 2, v0
	v_xor_b32_e32 v0, v1, v0
	v_lshl_add_u32 v142, v0, 4, 0
	v_lshlrev_b32_e32 v0, 6, v6
	v_bitop3_b32 v0, v0, v6, v7 bitop3:0x36
	v_lshl_add_u32 v143, v0, 4, 0
	s_barrier
	ds_write_b128 v142, v[2:5]
	ds_write_b128 v142, v[12:15] offset:4096
	ds_write_b128 v142, v[20:23] offset:8192
	;; [unrolled: 1-line block ×7, first 2 shown]
	s_waitcnt lgkmcnt(0)
	s_barrier
	ds_read_b128 v[0:3], v143
	ds_read_b128 v[4:7], v143 offset:4096
	ds_read_b128 v[12:15], v143 offset:8192
	;; [unrolled: 1-line block ×7, first 2 shown]
	s_waitcnt lgkmcnt(7)
	ds_bpermute_b32 v60, v129, v0
	v_cndmask_b32_e64 v0, -v0, v0, s[30:31]
	ds_bpermute_b32 v61, v129, v1
	v_cndmask_b32_e64 v1, -v1, v1, s[30:31]
	s_waitcnt lgkmcnt(0)
	v_add_f32_e32 v0, v0, v60
	ds_bpermute_b32 v60, v129, v2
	v_cndmask_b32_e64 v2, -v2, v2, s[30:31]
	v_add_f32_e32 v1, v1, v61
	ds_bpermute_b32 v61, v129, v3
	v_cndmask_b32_e64 v3, -v3, v3, s[30:31]
	s_waitcnt lgkmcnt(1)
	v_add_f32_e32 v2, v2, v60
	ds_bpermute_b32 v60, v129, v4
	v_cndmask_b32_e64 v4, -v4, v4, s[30:31]
	s_waitcnt lgkmcnt(1)
	;; [unrolled: 4-line block ×58, first 2 shown]
	v_add_f32_e32 v47, v47, v61
	ds_bpermute_b32 v61, v130, v53
	ds_bpermute_b32 v62, v130, v55
	s_waitcnt lgkmcnt(2)
	v_add_f32_e32 v52, v52, v60
	ds_bpermute_b32 v60, v130, v54
	v_cndmask_b32_e64 v53, -v53, v53, s[34:35]
	v_cndmask_b32_e64 v54, -v54, v54, s[34:35]
	;; [unrolled: 1-line block ×3, first 2 shown]
	s_barrier
	s_waitcnt lgkmcnt(0)
	ds_write_b128 v142, v[64:67]
	ds_write_b128 v142, v[68:71] offset:4096
	ds_write_b128 v142, v[72:75] offset:8192
	;; [unrolled: 1-line block ×7, first 2 shown]
	s_waitcnt lgkmcnt(0)
	s_barrier
	v_add_f32_e32 v53, v53, v61
	v_add_f32_e32 v54, v54, v60
	;; [unrolled: 1-line block ×3, first 2 shown]
	ds_read_b128 v[60:63], v143
	ds_read_b128 v[64:67], v143 offset:4096
	s_mul_i32 s0, s54, s3
	s_mul_hi_u32 s1, s54, s2
	s_add_i32 s0, s1, s0
	s_waitcnt lgkmcnt(1)
	ds_bpermute_b32 v68, v129, v60
	ds_bpermute_b32 v69, v129, v61
	ds_bpermute_b32 v70, v129, v62
	ds_bpermute_b32 v71, v129, v63
	v_cndmask_b32_e64 v61, -v61, v61, s[30:31]
	v_cndmask_b32_e64 v60, -v60, v60, s[30:31]
	v_cndmask_b32_e64 v63, -v63, v63, s[30:31]
	v_cndmask_b32_e64 v62, -v62, v62, s[30:31]
	s_waitcnt lgkmcnt(0)
	v_pk_add_f32 v[62:63], v[62:63], v[70:71]
	v_pk_add_f32 v[60:61], v[60:61], v[68:69]
	ds_bpermute_b32 v68, v130, v60
	ds_bpermute_b32 v69, v130, v61
	ds_bpermute_b32 v70, v130, v62
	ds_bpermute_b32 v71, v130, v63
	v_cndmask_b32_e64 v61, -v61, v61, s[34:35]
	v_cndmask_b32_e64 v60, -v60, v60, s[34:35]
	v_cndmask_b32_e64 v63, -v63, v63, s[34:35]
	v_cndmask_b32_e64 v62, -v62, v62, s[34:35]
	s_waitcnt lgkmcnt(0)
	v_pk_add_f32 v[62:63], v[62:63], v[70:71]
	v_pk_add_f32 v[60:61], v[60:61], v[68:69]
	;; [unrolled: 11-line block ×3, first 2 shown]
	ds_bpermute_b32 v72, v130, v64
	ds_bpermute_b32 v73, v130, v65
	;; [unrolled: 1-line block ×4, first 2 shown]
	ds_read_b128 v[68:71], v143 offset:8192
	v_cndmask_b32_e64 v65, -v65, v65, s[34:35]
	v_cndmask_b32_e64 v64, -v64, v64, s[34:35]
	;; [unrolled: 1-line block ×4, first 2 shown]
	s_waitcnt lgkmcnt(1)
	v_pk_add_f32 v[66:67], v[66:67], v[74:75]
	v_pk_add_f32 v[64:65], v[64:65], v[72:73]
	ds_read_b128 v[72:75], v143 offset:12288
	s_waitcnt lgkmcnt(1)
	ds_bpermute_b32 v76, v129, v68
	ds_bpermute_b32 v77, v129, v69
	ds_bpermute_b32 v78, v129, v70
	ds_bpermute_b32 v79, v129, v71
	v_cndmask_b32_e64 v69, -v69, v69, s[30:31]
	v_cndmask_b32_e64 v68, -v68, v68, s[30:31]
	v_cndmask_b32_e64 v71, -v71, v71, s[30:31]
	v_cndmask_b32_e64 v70, -v70, v70, s[30:31]
	s_waitcnt lgkmcnt(0)
	v_pk_add_f32 v[70:71], v[70:71], v[78:79]
	v_pk_add_f32 v[68:69], v[68:69], v[76:77]
	ds_bpermute_b32 v76, v130, v68
	ds_bpermute_b32 v77, v130, v69
	ds_bpermute_b32 v78, v130, v70
	ds_bpermute_b32 v79, v130, v71
	v_cndmask_b32_e64 v69, -v69, v69, s[34:35]
	v_cndmask_b32_e64 v68, -v68, v68, s[34:35]
	v_cndmask_b32_e64 v71, -v71, v71, s[34:35]
	v_cndmask_b32_e64 v70, -v70, v70, s[34:35]
	s_waitcnt lgkmcnt(0)
	v_pk_add_f32 v[70:71], v[70:71], v[78:79]
	v_pk_add_f32 v[68:69], v[68:69], v[76:77]
	;; [unrolled: 11-line block ×3, first 2 shown]
	ds_bpermute_b32 v80, v130, v72
	ds_bpermute_b32 v81, v130, v73
	;; [unrolled: 1-line block ×4, first 2 shown]
	ds_read_b128 v[76:79], v143 offset:16384
	v_cndmask_b32_e64 v73, -v73, v73, s[34:35]
	v_cndmask_b32_e64 v72, -v72, v72, s[34:35]
	;; [unrolled: 1-line block ×4, first 2 shown]
	s_waitcnt lgkmcnt(1)
	v_pk_add_f32 v[74:75], v[74:75], v[82:83]
	v_pk_add_f32 v[72:73], v[72:73], v[80:81]
	ds_read_b128 v[80:83], v143 offset:20480
	s_waitcnt lgkmcnt(1)
	ds_bpermute_b32 v92, v129, v76
	ds_bpermute_b32 v93, v129, v77
	ds_bpermute_b32 v94, v129, v78
	ds_bpermute_b32 v95, v129, v79
	v_cndmask_b32_e64 v77, -v77, v77, s[30:31]
	v_cndmask_b32_e64 v76, -v76, v76, s[30:31]
	v_cndmask_b32_e64 v79, -v79, v79, s[30:31]
	v_cndmask_b32_e64 v78, -v78, v78, s[30:31]
	s_waitcnt lgkmcnt(0)
	v_pk_add_f32 v[78:79], v[78:79], v[94:95]
	v_pk_add_f32 v[76:77], v[76:77], v[92:93]
	ds_bpermute_b32 v92, v130, v76
	ds_bpermute_b32 v93, v130, v77
	ds_bpermute_b32 v94, v130, v78
	ds_bpermute_b32 v95, v130, v79
	v_cndmask_b32_e64 v77, -v77, v77, s[34:35]
	v_cndmask_b32_e64 v76, -v76, v76, s[34:35]
	v_cndmask_b32_e64 v79, -v79, v79, s[34:35]
	v_cndmask_b32_e64 v78, -v78, v78, s[34:35]
	s_waitcnt lgkmcnt(0)
	v_pk_add_f32 v[78:79], v[78:79], v[94:95]
	v_pk_add_f32 v[76:77], v[76:77], v[92:93]
	;; [unrolled: 11-line block ×3, first 2 shown]
	ds_bpermute_b32 v120, v130, v80
	ds_bpermute_b32 v121, v130, v81
	;; [unrolled: 1-line block ×4, first 2 shown]
	v_cndmask_b32_e64 v81, -v81, v81, s[34:35]
	v_cndmask_b32_e64 v80, -v80, v80, s[34:35]
	;; [unrolled: 1-line block ×4, first 2 shown]
	ds_read_b128 v[92:95], v143 offset:24576
	s_waitcnt lgkmcnt(1)
	v_pk_add_f32 v[82:83], v[82:83], v[122:123]
	v_pk_add_f32 v[80:81], v[80:81], v[120:121]
	ds_read_b128 v[120:123], v143 offset:28672
	s_waitcnt lgkmcnt(0)
	s_barrier
	ds_write_b128 v142, v[84:87]
	ds_write_b128 v142, v[88:91] offset:4096
	ds_write_b128 v142, v[96:99] offset:8192
	ds_write_b128 v142, v[100:103] offset:12288
	ds_write_b128 v142, v[104:107] offset:16384
	ds_write_b128 v142, v[108:111] offset:20480
	ds_write_b128 v142, v[112:115] offset:24576
	ds_write_b128 v142, v[116:119] offset:28672
	s_waitcnt lgkmcnt(0)
	s_barrier
	ds_read_b128 v[88:91], v143
	ds_read_b128 v[96:99], v143 offset:4096
	ds_bpermute_b32 v124, v129, v92
	ds_bpermute_b32 v125, v129, v93
	;; [unrolled: 1-line block ×3, first 2 shown]
	s_waitcnt lgkmcnt(4)
	ds_bpermute_b32 v100, v129, v88
	ds_bpermute_b32 v101, v129, v89
	ds_bpermute_b32 v102, v129, v90
	ds_bpermute_b32 v103, v129, v91
	v_cndmask_b32_e64 v89, -v89, v89, s[30:31]
	v_cndmask_b32_e64 v88, -v88, v88, s[30:31]
	v_cndmask_b32_e64 v91, -v91, v91, s[30:31]
	v_cndmask_b32_e64 v90, -v90, v90, s[30:31]
	s_waitcnt lgkmcnt(0)
	v_pk_add_f32 v[90:91], v[90:91], v[102:103]
	v_pk_add_f32 v[88:89], v[88:89], v[100:101]
	ds_bpermute_b32 v100, v130, v88
	ds_bpermute_b32 v101, v130, v89
	ds_bpermute_b32 v102, v130, v90
	ds_bpermute_b32 v103, v130, v91
	v_cndmask_b32_e64 v89, -v89, v89, s[34:35]
	v_cndmask_b32_e64 v88, -v88, v88, s[34:35]
	v_cndmask_b32_e64 v91, -v91, v91, s[34:35]
	v_cndmask_b32_e64 v90, -v90, v90, s[34:35]
	s_waitcnt lgkmcnt(0)
	v_pk_add_f32 v[90:91], v[90:91], v[102:103]
	v_pk_add_f32 v[88:89], v[88:89], v[100:101]
	;; [unrolled: 11-line block ×3, first 2 shown]
	ds_bpermute_b32 v104, v130, v96
	ds_bpermute_b32 v105, v130, v97
	;; [unrolled: 1-line block ×4, first 2 shown]
	ds_read_b128 v[100:103], v143 offset:8192
	v_cndmask_b32_e64 v97, -v97, v97, s[34:35]
	v_cndmask_b32_e64 v96, -v96, v96, s[34:35]
	;; [unrolled: 1-line block ×4, first 2 shown]
	s_waitcnt lgkmcnt(1)
	v_pk_add_f32 v[98:99], v[98:99], v[106:107]
	v_pk_add_f32 v[96:97], v[96:97], v[104:105]
	ds_read_b128 v[104:107], v143 offset:12288
	s_waitcnt lgkmcnt(1)
	ds_bpermute_b32 v108, v129, v100
	ds_bpermute_b32 v109, v129, v101
	ds_bpermute_b32 v110, v129, v102
	ds_bpermute_b32 v111, v129, v103
	v_cndmask_b32_e64 v101, -v101, v101, s[30:31]
	v_cndmask_b32_e64 v100, -v100, v100, s[30:31]
	v_cndmask_b32_e64 v103, -v103, v103, s[30:31]
	v_cndmask_b32_e64 v102, -v102, v102, s[30:31]
	s_waitcnt lgkmcnt(0)
	v_pk_add_f32 v[102:103], v[102:103], v[110:111]
	v_pk_add_f32 v[100:101], v[100:101], v[108:109]
	ds_bpermute_b32 v108, v130, v100
	ds_bpermute_b32 v109, v130, v101
	ds_bpermute_b32 v110, v130, v102
	ds_bpermute_b32 v111, v130, v103
	v_cndmask_b32_e64 v101, -v101, v101, s[34:35]
	v_cndmask_b32_e64 v100, -v100, v100, s[34:35]
	v_cndmask_b32_e64 v103, -v103, v103, s[34:35]
	v_cndmask_b32_e64 v102, -v102, v102, s[34:35]
	s_waitcnt lgkmcnt(0)
	v_pk_add_f32 v[102:103], v[102:103], v[110:111]
	v_pk_add_f32 v[100:101], v[100:101], v[108:109]
	;; [unrolled: 11-line block ×3, first 2 shown]
	ds_bpermute_b32 v127, v129, v95
	ds_bpermute_b32 v112, v130, v104
	;; [unrolled: 1-line block ×5, first 2 shown]
	ds_read_b128 v[108:111], v143 offset:16384
	v_cndmask_b32_e64 v93, -v93, v93, s[30:31]
	v_cndmask_b32_e64 v92, -v92, v92, s[30:31]
	;; [unrolled: 1-line block ×8, first 2 shown]
	s_waitcnt lgkmcnt(5)
	v_pk_add_f32 v[94:95], v[94:95], v[126:127]
	v_pk_add_f32 v[92:93], v[92:93], v[124:125]
	s_waitcnt lgkmcnt(1)
	v_pk_add_f32 v[106:107], v[106:107], v[114:115]
	v_pk_add_f32 v[104:105], v[104:105], v[112:113]
	ds_read_b128 v[112:115], v143 offset:20480
	s_waitcnt lgkmcnt(1)
	ds_bpermute_b32 v116, v129, v108
	ds_bpermute_b32 v117, v129, v109
	ds_bpermute_b32 v118, v129, v110
	ds_bpermute_b32 v119, v129, v111
	ds_bpermute_b32 v124, v130, v92
	ds_bpermute_b32 v125, v130, v93
	ds_bpermute_b32 v126, v130, v94
	ds_bpermute_b32 v127, v130, v95
	v_cndmask_b32_e64 v109, -v109, v109, s[30:31]
	v_cndmask_b32_e64 v108, -v108, v108, s[30:31]
	v_cndmask_b32_e64 v111, -v111, v111, s[30:31]
	v_cndmask_b32_e64 v110, -v110, v110, s[30:31]
	v_cndmask_b32_e64 v93, -v93, v93, s[34:35]
	v_cndmask_b32_e64 v92, -v92, v92, s[34:35]
	v_cndmask_b32_e64 v95, -v95, v95, s[34:35]
	v_cndmask_b32_e64 v94, -v94, v94, s[34:35]
	s_waitcnt lgkmcnt(4)
	v_pk_add_f32 v[110:111], v[110:111], v[118:119]
	v_pk_add_f32 v[108:109], v[108:109], v[116:117]
	s_waitcnt lgkmcnt(0)
	v_pk_add_f32 v[94:95], v[94:95], v[126:127]
	v_pk_add_f32 v[92:93], v[92:93], v[124:125]
	ds_bpermute_b32 v124, v129, v120
	ds_bpermute_b32 v125, v129, v121
	ds_bpermute_b32 v126, v129, v122
	ds_bpermute_b32 v127, v129, v123
	ds_bpermute_b32 v116, v130, v108
	ds_bpermute_b32 v117, v130, v109
	ds_bpermute_b32 v118, v130, v110
	ds_bpermute_b32 v119, v130, v111
	v_cndmask_b32_e64 v121, -v121, v121, s[30:31]
	v_cndmask_b32_e64 v120, -v120, v120, s[30:31]
	v_cndmask_b32_e64 v123, -v123, v123, s[30:31]
	v_cndmask_b32_e64 v122, -v122, v122, s[30:31]
	v_cndmask_b32_e64 v109, -v109, v109, s[34:35]
	v_cndmask_b32_e64 v108, -v108, v108, s[34:35]
	v_cndmask_b32_e64 v111, -v111, v111, s[34:35]
	v_cndmask_b32_e64 v110, -v110, v110, s[34:35]
	s_waitcnt lgkmcnt(4)
	v_pk_add_f32 v[122:123], v[122:123], v[126:127]
	v_pk_add_f32 v[120:121], v[120:121], v[124:125]
	s_waitcnt lgkmcnt(0)
	v_pk_add_f32 v[110:111], v[110:111], v[118:119]
	v_pk_add_f32 v[108:109], v[108:109], v[116:117]
	;; [unrolled: 22-line block ×3, first 2 shown]
	ds_bpermute_b32 v120, v130, v112
	ds_bpermute_b32 v121, v130, v113
	;; [unrolled: 1-line block ×4, first 2 shown]
	ds_read_b128 v[116:119], v143 offset:24576
	v_cndmask_b32_e64 v113, -v113, v113, s[34:35]
	v_cndmask_b32_e64 v112, -v112, v112, s[34:35]
	;; [unrolled: 1-line block ×4, first 2 shown]
	s_waitcnt lgkmcnt(1)
	v_pk_add_f32 v[114:115], v[114:115], v[122:123]
	v_pk_add_f32 v[112:113], v[112:113], v[120:121]
	ds_read_b128 v[120:123], v143 offset:28672
	s_waitcnt lgkmcnt(1)
	ds_bpermute_b32 v124, v129, v116
	ds_bpermute_b32 v125, v129, v117
	;; [unrolled: 1-line block ×4, first 2 shown]
	v_cndmask_b32_e64 v117, -v117, v117, s[30:31]
	v_cndmask_b32_e64 v116, -v116, v116, s[30:31]
	;; [unrolled: 1-line block ×4, first 2 shown]
	s_waitcnt lgkmcnt(2)
	v_pk_add_f32 v[116:117], v[116:117], v[124:125]
	s_waitcnt lgkmcnt(0)
	v_pk_add_f32 v[118:119], v[118:119], v[126:127]
	ds_bpermute_b32 v124, v130, v116
	ds_bpermute_b32 v125, v130, v117
	;; [unrolled: 1-line block ×4, first 2 shown]
	v_cndmask_b32_e64 v117, -v117, v117, s[34:35]
	v_cndmask_b32_e64 v116, -v116, v116, s[34:35]
	;; [unrolled: 1-line block ×4, first 2 shown]
	s_waitcnt lgkmcnt(2)
	v_pk_add_f32 v[116:117], v[116:117], v[124:125]
	ds_bpermute_b32 v124, v129, v120
	ds_bpermute_b32 v125, v129, v121
	s_waitcnt lgkmcnt(2)
	v_pk_add_f32 v[118:119], v[118:119], v[126:127]
	ds_bpermute_b32 v126, v129, v122
	ds_bpermute_b32 v127, v129, v123
	v_cndmask_b32_e64 v121, -v121, v121, s[30:31]
	v_cndmask_b32_e64 v120, -v120, v120, s[30:31]
	v_cndmask_b32_e64 v123, -v123, v123, s[30:31]
	v_cndmask_b32_e64 v122, -v122, v122, s[30:31]
	s_waitcnt lgkmcnt(2)
	v_pk_add_f32 v[120:121], v[120:121], v[124:125]
	s_waitcnt lgkmcnt(0)
	v_pk_add_f32 v[126:127], v[122:123], v[126:127]
	ds_bpermute_b32 v124, v130, v120
	ds_bpermute_b32 v125, v130, v121
	v_cndmask_b32_e64 v149, -v121, v121, s[34:35]
	v_cndmask_b32_e64 v148, -v120, v120, s[34:35]
	v_pk_add_f32 v[120:121], v[140:141], v[138:139]
	v_pk_add_f32 v[122:123], v[136:137], v[134:135]
	ds_bpermute_b32 v134, v130, v122
	ds_bpermute_b32 v135, v130, v123
	ds_bpermute_b32 v136, v130, v120
	ds_bpermute_b32 v137, v130, v121
	v_cndmask_b32_e64 v123, -v123, v123, s[34:35]
	v_cndmask_b32_e64 v122, -v122, v122, s[34:35]
	v_cndmask_b32_e64 v121, -v121, v121, s[34:35]
	v_cndmask_b32_e64 v120, -v120, v120, s[34:35]
	s_waitcnt lgkmcnt(0)
	v_pk_add_f32 v[120:121], v[120:121], v[136:137]
	v_pk_add_f32 v[122:123], v[122:123], v[134:135]
	ds_bpermute_b32 v134, v131, v122
	ds_bpermute_b32 v135, v131, v123
	ds_bpermute_b32 v136, v131, v120
	ds_bpermute_b32 v137, v131, v121
	v_cndmask_b32_e64 v123, -v123, v123, s[36:37]
	v_cndmask_b32_e64 v122, -v122, v122, s[36:37]
	v_cndmask_b32_e64 v121, -v121, v121, s[36:37]
	v_cndmask_b32_e64 v120, -v120, v120, s[36:37]
	s_waitcnt lgkmcnt(0)
	;; [unrolled: 11-line block ×5, first 2 shown]
	v_pk_add_f32 v[122:123], v[120:121], v[134:135]
	v_pk_add_f32 v[120:121], v[136:137], v[132:133]
	s_barrier
	ds_write_b128 v142, v[120:123]
	ds_write_b128 v142, v[8:11] offset:4096
	ds_write_b128 v142, v[16:19] offset:8192
	;; [unrolled: 1-line block ×7, first 2 shown]
	s_waitcnt lgkmcnt(0)
	s_barrier
	ds_read_b128 v[16:19], v143
	ds_read_b128 v[24:27], v143 offset:4096
	ds_read_b128 v[120:123], v143 offset:20480
	ds_bpermute_b32 v146, v130, v126
	ds_bpermute_b32 v147, v130, v127
	s_waitcnt lgkmcnt(4)
	ds_bpermute_b32 v32, v129, v16
	ds_bpermute_b32 v33, v129, v17
	ds_bpermute_b32 v34, v129, v18
	ds_bpermute_b32 v35, v129, v19
	v_cndmask_b32_e64 v17, -v17, v17, s[30:31]
	v_cndmask_b32_e64 v16, -v16, v16, s[30:31]
	v_cndmask_b32_e64 v19, -v19, v19, s[30:31]
	v_cndmask_b32_e64 v18, -v18, v18, s[30:31]
	s_waitcnt lgkmcnt(0)
	v_pk_add_f32 v[18:19], v[18:19], v[34:35]
	v_pk_add_f32 v[16:17], v[16:17], v[32:33]
	ds_bpermute_b32 v32, v130, v16
	ds_bpermute_b32 v33, v130, v17
	ds_bpermute_b32 v34, v130, v18
	ds_bpermute_b32 v35, v130, v19
	v_cndmask_b32_e64 v17, -v17, v17, s[34:35]
	v_cndmask_b32_e64 v16, -v16, v16, s[34:35]
	v_cndmask_b32_e64 v19, -v19, v19, s[34:35]
	v_cndmask_b32_e64 v18, -v18, v18, s[34:35]
	s_waitcnt lgkmcnt(0)
	v_pk_add_f32 v[18:19], v[18:19], v[34:35]
	v_pk_add_f32 v[16:17], v[16:17], v[32:33]
	;; [unrolled: 11-line block ×3, first 2 shown]
	ds_bpermute_b32 v40, v130, v24
	ds_bpermute_b32 v41, v130, v25
	;; [unrolled: 1-line block ×4, first 2 shown]
	ds_read_b128 v[32:35], v143 offset:8192
	v_cndmask_b32_e64 v25, -v25, v25, s[34:35]
	v_cndmask_b32_e64 v24, -v24, v24, s[34:35]
	v_cndmask_b32_e64 v27, -v27, v27, s[34:35]
	v_cndmask_b32_e64 v26, -v26, v26, s[34:35]
	s_waitcnt lgkmcnt(1)
	v_pk_add_f32 v[26:27], v[26:27], v[42:43]
	v_pk_add_f32 v[24:25], v[24:25], v[40:41]
	ds_read_b128 v[40:43], v143 offset:12288
	s_waitcnt lgkmcnt(1)
	ds_bpermute_b32 v48, v129, v32
	ds_bpermute_b32 v49, v129, v33
	ds_bpermute_b32 v50, v129, v34
	ds_bpermute_b32 v51, v129, v35
	v_cndmask_b32_e64 v33, -v33, v33, s[30:31]
	v_cndmask_b32_e64 v32, -v32, v32, s[30:31]
	v_cndmask_b32_e64 v35, -v35, v35, s[30:31]
	v_cndmask_b32_e64 v34, -v34, v34, s[30:31]
	s_waitcnt lgkmcnt(0)
	v_pk_add_f32 v[34:35], v[34:35], v[50:51]
	v_pk_add_f32 v[32:33], v[32:33], v[48:49]
	ds_bpermute_b32 v48, v130, v32
	ds_bpermute_b32 v49, v130, v33
	ds_bpermute_b32 v50, v130, v34
	ds_bpermute_b32 v51, v130, v35
	v_cndmask_b32_e64 v33, -v33, v33, s[34:35]
	v_cndmask_b32_e64 v32, -v32, v32, s[34:35]
	v_cndmask_b32_e64 v35, -v35, v35, s[34:35]
	v_cndmask_b32_e64 v34, -v34, v34, s[34:35]
	s_waitcnt lgkmcnt(0)
	v_pk_add_f32 v[34:35], v[34:35], v[50:51]
	v_pk_add_f32 v[32:33], v[32:33], v[48:49]
	;; [unrolled: 11-line block ×3, first 2 shown]
	ds_bpermute_b32 v56, v130, v40
	ds_bpermute_b32 v57, v130, v41
	;; [unrolled: 1-line block ×4, first 2 shown]
	ds_read_b128 v[48:51], v143 offset:16384
	v_cndmask_b32_e64 v41, -v41, v41, s[34:35]
	v_cndmask_b32_e64 v40, -v40, v40, s[34:35]
	;; [unrolled: 1-line block ×4, first 2 shown]
	s_waitcnt lgkmcnt(1)
	v_pk_add_f32 v[42:43], v[42:43], v[58:59]
	v_pk_add_f32 v[40:41], v[40:41], v[56:57]
	s_waitcnt lgkmcnt(0)
	ds_bpermute_b32 v56, v129, v48
	ds_bpermute_b32 v57, v129, v49
	;; [unrolled: 1-line block ×4, first 2 shown]
	v_cndmask_b32_e64 v49, -v49, v49, s[30:31]
	v_cndmask_b32_e64 v48, -v48, v48, s[30:31]
	;; [unrolled: 1-line block ×4, first 2 shown]
	s_waitcnt lgkmcnt(0)
	v_pk_add_f32 v[50:51], v[50:51], v[58:59]
	v_pk_add_f32 v[48:49], v[48:49], v[56:57]
	ds_bpermute_b32 v56, v130, v48
	ds_bpermute_b32 v57, v130, v49
	ds_bpermute_b32 v58, v130, v50
	ds_bpermute_b32 v59, v130, v51
	v_cndmask_b32_e64 v49, -v49, v49, s[34:35]
	v_cndmask_b32_e64 v48, -v48, v48, s[34:35]
	;; [unrolled: 1-line block ×4, first 2 shown]
	s_waitcnt lgkmcnt(0)
	v_pk_add_f32 v[58:59], v[50:51], v[58:59]
	v_pk_add_f32 v[56:57], v[48:49], v[56:57]
	ds_bpermute_b32 v48, v129, v120
	ds_bpermute_b32 v49, v129, v121
	;; [unrolled: 1-line block ×4, first 2 shown]
	v_cndmask_b32_e64 v121, -v121, v121, s[30:31]
	v_cndmask_b32_e64 v120, -v120, v120, s[30:31]
	v_cndmask_b32_e64 v123, -v123, v123, s[30:31]
	v_cndmask_b32_e64 v122, -v122, v122, s[30:31]
	v_cndmask_b32_e64 v127, -v127, v127, s[34:35]
	v_cndmask_b32_e64 v126, -v126, v126, s[34:35]
	s_waitcnt lgkmcnt(0)
	v_pk_add_f32 v[122:123], v[122:123], v[50:51]
	v_pk_add_f32 v[48:49], v[120:121], v[48:49]
	;; [unrolled: 1-line block ×4, first 2 shown]
	ds_bpermute_b32 v120, v130, v48
	ds_bpermute_b32 v121, v130, v49
	;; [unrolled: 1-line block ×4, first 2 shown]
	v_cndmask_b32_e64 v127, -v49, v49, s[34:35]
	v_cndmask_b32_e64 v126, -v48, v48, s[34:35]
	ds_read_b128 v[48:51], v143 offset:24576
	v_cndmask_b32_e64 v123, -v123, v123, s[34:35]
	v_cndmask_b32_e64 v122, -v122, v122, s[34:35]
	s_waitcnt lgkmcnt(1)
	v_pk_add_f32 v[122:123], v[122:123], v[124:125]
	v_pk_add_f32 v[120:121], v[126:127], v[120:121]
	ds_read_b128 v[124:127], v143 offset:28672
	s_waitcnt lgkmcnt(1)
	ds_bpermute_b32 v132, v129, v48
	ds_bpermute_b32 v133, v129, v49
	ds_bpermute_b32 v134, v129, v50
	ds_bpermute_b32 v135, v129, v51
	v_cndmask_b32_e64 v49, -v49, v49, s[30:31]
	v_cndmask_b32_e64 v48, -v48, v48, s[30:31]
	v_cndmask_b32_e64 v51, -v51, v51, s[30:31]
	v_cndmask_b32_e64 v50, -v50, v50, s[30:31]
	s_waitcnt lgkmcnt(0)
	v_pk_add_f32 v[50:51], v[50:51], v[134:135]
	v_pk_add_f32 v[48:49], v[48:49], v[132:133]
	ds_bpermute_b32 v132, v130, v48
	ds_bpermute_b32 v133, v130, v49
	ds_bpermute_b32 v134, v130, v50
	ds_bpermute_b32 v135, v130, v51
	v_cndmask_b32_e64 v49, -v49, v49, s[34:35]
	v_cndmask_b32_e64 v48, -v48, v48, s[34:35]
	v_cndmask_b32_e64 v51, -v51, v51, s[34:35]
	v_cndmask_b32_e64 v50, -v50, v50, s[34:35]
	s_waitcnt lgkmcnt(0)
	v_pk_add_f32 v[134:135], v[50:51], v[134:135]
	v_pk_add_f32 v[132:133], v[48:49], v[132:133]
	;; [unrolled: 11-line block ×4, first 2 shown]
	s_barrier
	ds_write_b128 v143, v[0:3]
	ds_write_b128 v143, v[4:7] offset:4096
	ds_write_b128 v143, v[12:15] offset:8192
	ds_write_b128 v143, v[20:23] offset:12288
	ds_write_b128 v143, v[28:31] offset:16384
	ds_write_b128 v143, v[36:39] offset:20480
	ds_write_b128 v143, v[44:47] offset:24576
	ds_write_b128 v143, v[52:55] offset:28672
	s_waitcnt lgkmcnt(0)
	s_barrier
	ds_read_b128 v[28:31], v142
	ds_read_b128 v[0:3], v142 offset:4096
	ds_read_b128 v[44:47], v142 offset:8192
	ds_read_b128 v[12:15], v142 offset:12288
	ds_read_b128 v[36:39], v142 offset:16384
	ds_read_b128 v[4:7], v142 offset:20480
	ds_read_b128 v[48:51], v142 offset:24576
	ds_read_b128 v[20:23], v142 offset:28672
	s_waitcnt lgkmcnt(0)
	s_barrier
	ds_write_b128 v143, v[60:63]
	ds_write_b128 v143, v[64:67] offset:4096
	ds_write_b128 v143, v[68:71] offset:8192
	ds_write_b128 v143, v[72:75] offset:12288
	ds_write_b128 v143, v[76:79] offset:16384
	ds_write_b128 v143, v[80:83] offset:20480
	ds_write_b128 v143, v[92:95] offset:24576
	ds_write_b128 v143, v[84:87] offset:28672
	s_waitcnt lgkmcnt(0)
	s_barrier
	ds_read_b128 v[80:83], v142
	ds_read_b128 v[68:71], v142 offset:4096
	ds_read_b128 v[84:87], v142 offset:8192
	ds_read_b128 v[76:79], v142 offset:12288
	ds_read_b128 v[64:67], v142 offset:16384
	ds_read_b128 v[52:55], v142 offset:20480
	ds_read_b128 v[72:75], v142 offset:24576
	ds_read_b128 v[60:63], v142 offset:28672
	s_waitcnt lgkmcnt(0)
	;; [unrolled: 20-line block ×3, first 2 shown]
	s_barrier
	ds_write_b128 v143, v[16:19]
	ds_write_b128 v143, v[24:27] offset:4096
	ds_write_b128 v143, v[32:35] offset:8192
	;; [unrolled: 1-line block ×7, first 2 shown]
	s_waitcnt lgkmcnt(0)
	s_barrier
	ds_read_b128 v[120:123], v142
	ds_read_b128 v[40:43], v142 offset:4096
	ds_read_b128 v[124:127], v142 offset:8192
	;; [unrolled: 1-line block ×7, first 2 shown]
	v_pk_add_f32 v[184:185], v[30:31], v[46:47]
	v_pk_add_f32 v[188:189], v[38:39], v[50:51]
	;; [unrolled: 1-line block ×13, first 2 shown]
	v_accvgpr_write_b32 a18, v130
	v_pk_add_f32 v[200:201], v[110:111], v[114:115]
	v_pk_add_f32 v[204:205], v[94:95], v[102:103]
	s_waitcnt lgkmcnt(5)
	v_pk_add_f32 v[210:211], v[122:123], v[126:127]
	s_waitcnt lgkmcnt(1)
	v_pk_add_f32 v[218:219], v[34:35], v[58:59]
	v_accvgpr_write_b32 a19, v131
	v_pk_add_f32 v[130:131], v[154:155], v[162:163]
	v_pk_add_f32 v[152:153], v[200:201], v[204:205]
	;; [unrolled: 1-line block ×3, first 2 shown]
	v_accvgpr_write_b32 a16, v130
	v_pk_add_f32 v[198:199], v[108:109], v[112:113]
	v_pk_add_f32 v[202:203], v[92:93], v[100:101]
	;; [unrolled: 1-line block ×4, first 2 shown]
	v_accvgpr_write_b32 a17, v131
	v_pk_add_f32 v[130:131], v[152:153], v[160:161]
	v_pk_add_f32 v[150:151], v[198:199], v[202:203]
	;; [unrolled: 1-line block ×3, first 2 shown]
	v_accvgpr_write_b32 a22, v130
	v_accvgpr_write_b32 a23, v131
	v_pk_add_f32 v[130:131], v[150:151], v[156:157]
	v_pk_add_f32 v[212:213], v[2:3], v[14:15]
	;; [unrolled: 1-line block ×5, first 2 shown]
	v_accvgpr_write_b32 a20, v130
	v_pk_add_f32 v[174:175], v[212:213], v[220:221]
	v_pk_add_f32 v[180:181], v[224:225], v[228:229]
	v_accvgpr_write_b32 a21, v131
	v_pk_add_f32 v[208:209], v[0:1], v[12:13]
	v_pk_add_f32 v[216:217], v[4:5], v[20:21]
	;; [unrolled: 1-line block ×7, first 2 shown]
	v_accvgpr_write_b32 a26, v130
	v_pk_add_f32 v[232:233], v[98:99], v[106:107]
	v_pk_add_f32 v[238:239], v[10:11], v[90:91]
	;; [unrolled: 1-line block ×3, first 2 shown]
	s_waitcnt lgkmcnt(0)
	v_pk_add_f32 v[132:133], v[18:19], v[26:27]
	v_accvgpr_write_b32 a27, v131
	v_pk_add_f32 v[130:131], v[170:171], v[178:179]
	v_pk_add_f32 v[168:169], v[232:233], v[238:239]
	;; [unrolled: 1-line block ×3, first 2 shown]
	v_accvgpr_write_b32 a24, v130
	s_mul_i32 s1, s55, s2
	v_pk_add_f32 v[230:231], v[96:97], v[104:105]
	v_pk_add_f32 v[236:237], v[8:9], v[88:89]
	;; [unrolled: 1-line block ×4, first 2 shown]
	v_accvgpr_write_b32 a25, v131
	v_pk_add_f32 v[130:131], v[168:169], v[176:177]
	s_add_i32 s1, s0, s1
	s_mul_i32 s0, s54, s2
	v_pk_add_f32 v[166:167], v[230:231], v[236:237]
	v_pk_add_f32 v[172:173], v[240:241], v[254:255]
	v_accvgpr_write_b32 a30, v130
	s_lshl_b64 s[0:1], s[0:1], 1
	v_accvgpr_write_b32 a31, v131
	v_pk_add_f32 v[130:131], v[166:167], v[172:173]
	s_add_u32 s0, s50, s0
	v_accvgpr_write_b32 a28, v130
	s_addc_u32 s1, s51, s1
	s_mov_b32 s49, s48
	v_accvgpr_write_b32 a29, v131
	s_and_saveexec_b64 s[2:3], s[28:29]
	s_cbranch_execz .LBB25_34
; %bb.33:
	v_accvgpr_read_b32 v131, a19
	v_accvgpr_read_b32 v135, a23
	;; [unrolled: 1-line block ×4, first 2 shown]
	v_pk_add_f32 v[130:131], v[130:131], v[134:135]
	v_accvgpr_read_b32 v135, a17
	v_accvgpr_read_b32 v137, a21
	;; [unrolled: 1-line block ×4, first 2 shown]
	v_pk_add_f32 v[134:135], v[134:135], v[136:137]
	s_mov_b32 s28, s48
	s_mov_b32 s29, s48
	v_pk_mul_f32 v[130:131], s[28:29], v[130:131]
	v_pk_mul_f32 v[136:137], s[48:49], v[134:135]
	v_cvt_pk_f16_f32 v135, v130, v131
	v_cvt_pk_f16_f32 v134, v136, v137
	v_accvgpr_read_b32 v131, a27
	v_accvgpr_read_b32 v137, a31
	;; [unrolled: 1-line block ×4, first 2 shown]
	v_pk_add_f32 v[130:131], v[130:131], v[136:137]
	v_accvgpr_read_b32 v137, a25
	v_accvgpr_read_b32 v139, a29
	;; [unrolled: 1-line block ×4, first 2 shown]
	v_pk_add_f32 v[136:137], v[136:137], v[138:139]
	v_pk_mul_f32 v[130:131], s[28:29], v[130:131]
	v_pk_mul_f32 v[138:139], s[48:49], v[136:137]
	v_cvt_pk_f16_f32 v137, v130, v131
	v_cvt_pk_f16_f32 v136, v138, v139
	global_store_dwordx4 v128, v[134:137], s[0:1]
.LBB25_34:
	s_or_b64 exec, exec, s[2:3]
	v_sub_f32_e32 v235, v31, v47
	v_sub_f32_e32 v234, v30, v46
	;; [unrolled: 1-line block ×64, first 2 shown]
	v_pk_add_f32 v[44:45], v[234:235], v[244:245]
	v_pk_add_f32 v[48:49], v[46:47], v[50:51]
	;; [unrolled: 1-line block ×24, first 2 shown]
	s_and_saveexec_b64 s[2:3], s[26:27]
	s_cbranch_execz .LBB25_36
; %bb.35:
	v_pk_add_f32 v[16:17], v[2:3], v[6:7]
	v_pk_add_f32 v[18:19], v[0:1], v[4:5]
	s_mov_b32 s26, s48
	s_mov_b32 s27, s48
	v_pk_mul_f32 v[16:17], s[26:27], v[16:17]
	v_pk_mul_f32 v[18:19], s[48:49], v[18:19]
	v_cvt_pk_f16_f32 v17, v16, v17
	v_cvt_pk_f16_f32 v16, v18, v19
	v_pk_add_f32 v[18:19], v[10:11], v[14:15]
	v_pk_add_f32 v[20:21], v[8:9], v[12:13]
	v_pk_mul_f32 v[18:19], s[26:27], v[18:19]
	v_pk_mul_f32 v[20:21], s[48:49], v[20:21]
	v_cvt_pk_f16_f32 v19, v18, v19
	v_cvt_pk_f16_f32 v18, v20, v21
	v_accvgpr_read_b32 v20, a14
	global_store_dwordx4 v20, v[16:19], s[0:1]
.LBB25_36:
	s_or_b64 exec, exec, s[2:3]
	v_sub_f32_e32 v99, v185, v189
	v_sub_f32_e32 v98, v184, v188
	;; [unrolled: 1-line block ×32, first 2 shown]
	v_pk_add_f32 v[16:17], v[98:99], v[106:107]
	v_pk_add_f32 v[18:19], v[96:97], v[104:105]
	;; [unrolled: 1-line block ×8, first 2 shown]
	s_and_saveexec_b64 s[2:3], s[24:25]
	s_cbranch_execz .LBB25_38
; %bb.37:
	v_pk_add_f32 v[132:133], v[16:17], v[20:21]
	v_pk_add_f32 v[182:183], v[18:19], v[22:23]
	s_mov_b32 s24, s48
	s_mov_b32 s25, s48
	v_pk_mul_f32 v[132:133], s[24:25], v[132:133]
	v_pk_mul_f32 v[184:185], s[48:49], v[182:183]
	v_cvt_pk_f16_f32 v183, v132, v133
	v_cvt_pk_f16_f32 v182, v184, v185
	v_pk_add_f32 v[132:133], v[24:25], v[28:29]
	v_pk_add_f32 v[184:185], v[26:27], v[30:31]
	v_pk_mul_f32 v[132:133], s[24:25], v[132:133]
	v_pk_mul_f32 v[186:187], s[48:49], v[184:185]
	v_cvt_pk_f16_f32 v185, v132, v133
	v_cvt_pk_f16_f32 v184, v186, v187
	v_accvgpr_read_b32 v132, a13
	global_store_dwordx4 v132, v[182:185], s[0:1]
.LBB25_38:
	s_or_b64 exec, exec, s[2:3]
	v_sub_f32_e32 v187, v235, v245
	v_sub_f32_e32 v186, v234, v244
	;; [unrolled: 1-line block ×32, first 2 shown]
	v_pk_add_f32 v[32:33], v[186:187], v[196:197]
	v_pk_add_f32 v[34:35], v[184:185], v[194:195]
	;; [unrolled: 1-line block ×8, first 2 shown]
	s_and_saveexec_b64 s[2:3], s[20:21]
	s_cbranch_execz .LBB25_40
; %bb.39:
	v_pk_add_f32 v[58:59], v[32:33], v[38:39]
	v_pk_add_f32 v[60:61], v[34:35], v[42:43]
	s_mov_b32 s20, s48
	s_mov_b32 s21, s48
	v_pk_mul_f32 v[58:59], s[20:21], v[58:59]
	v_pk_mul_f32 v[60:61], s[48:49], v[60:61]
	v_cvt_pk_f16_f32 v59, v58, v59
	v_cvt_pk_f16_f32 v58, v60, v61
	v_pk_add_f32 v[60:61], v[36:37], v[46:47]
	v_pk_add_f32 v[64:65], v[40:41], v[50:51]
	v_pk_mul_f32 v[60:61], s[20:21], v[60:61]
	v_pk_mul_f32 v[64:65], s[48:49], v[64:65]
	v_cvt_pk_f16_f32 v61, v60, v61
	v_cvt_pk_f16_f32 v60, v64, v65
	v_accvgpr_read_b32 v64, a11
	global_store_dwordx4 v64, v[58:61], s[0:1]
.LBB25_40:
	s_or_b64 exec, exec, s[2:3]
	v_sub_f32_e32 v65, v159, v165
	v_sub_f32_e32 v64, v158, v164
	v_sub_f32_e32 v67, v155, v163
	v_sub_f32_e32 v66, v154, v162
	v_sub_f32_e32 v75, v153, v161
	v_sub_f32_e32 v74, v152, v160
	v_sub_f32_e32 v77, v151, v157
	v_sub_f32_e32 v76, v150, v156
	v_sub_f32_e32 v59, v175, v181
	v_sub_f32_e32 v58, v174, v180
	v_sub_f32_e32 v61, v171, v179
	v_sub_f32_e32 v60, v170, v178
	v_sub_f32_e32 v69, v169, v177
	v_sub_f32_e32 v68, v168, v176
	v_sub_f32_e32 v71, v167, v173
	v_sub_f32_e32 v70, v166, v172
	s_and_saveexec_b64 s[2:3], s[14:15]
	s_cbranch_execz .LBB25_42
; %bb.41:
	v_pk_add_f32 v[144:145], v[64:65], v[74:75]
	v_pk_add_f32 v[146:147], v[66:67], v[76:77]
	s_mov_b32 s14, s48
	s_mov_b32 s15, s48
	v_pk_mul_f32 v[144:145], s[14:15], v[144:145]
	v_pk_mul_f32 v[146:147], s[48:49], v[146:147]
	v_cvt_pk_f16_f32 v145, v144, v145
	v_cvt_pk_f16_f32 v144, v146, v147
	v_pk_add_f32 v[146:147], v[58:59], v[68:69]
	v_pk_add_f32 v[148:149], v[60:61], v[70:71]
	v_pk_mul_f32 v[146:147], s[14:15], v[146:147]
	v_pk_mul_f32 v[148:149], s[48:49], v[148:149]
	v_cvt_pk_f16_f32 v147, v146, v147
	v_cvt_pk_f16_f32 v146, v148, v149
	v_accvgpr_read_b32 v148, a9
	global_store_dwordx4 v148, v[144:147], s[0:1]
.LBB25_42:
	s_or_b64 exec, exec, s[2:3]
	v_sub_f32_e32 v53, v45, v53
	v_sub_f32_e32 v52, v44, v52
	v_sub_f32_e32 v55, v49, v55
	v_sub_f32_e32 v54, v48, v54
	v_sub_f32_e32 v73, v57, v73
	v_sub_f32_e32 v72, v56, v72
	v_sub_f32_e32 v79, v63, v79
	v_sub_f32_e32 v78, v62, v78
	v_sub_f32_e32 v45, v81, v85
	v_sub_f32_e32 v44, v80, v84
	v_sub_f32_e32 v49, v83, v87
	v_sub_f32_e32 v48, v82, v86
	v_sub_f32_e32 v57, v89, v93
	v_sub_f32_e32 v56, v88, v92
	v_sub_f32_e32 v63, v91, v95
	v_sub_f32_e32 v62, v90, v94
	;; [unrolled: 37-line block ×3, first 2 shown]
	s_and_saveexec_b64 s[2:3], s[46:47]
	s_cbranch_execz .LBB25_46
; %bb.45:
	v_pk_add_f32 v[96:97], v[84:85], v[92:93]
	v_pk_add_f32 v[98:99], v[86:87], v[94:95]
	s_mov_b32 s8, s48
	s_mov_b32 s9, s48
	v_pk_mul_f32 v[96:97], s[8:9], v[96:97]
	v_pk_mul_f32 v[98:99], s[48:49], v[98:99]
	v_cvt_pk_f16_f32 v97, v96, v97
	v_cvt_pk_f16_f32 v96, v98, v99
	v_pk_add_f32 v[98:99], v[80:81], v[88:89]
	v_pk_add_f32 v[100:101], v[82:83], v[90:91]
	v_pk_mul_f32 v[98:99], s[8:9], v[98:99]
	v_pk_mul_f32 v[100:101], s[48:49], v[100:101]
	v_cvt_pk_f16_f32 v99, v98, v99
	v_cvt_pk_f16_f32 v98, v100, v101
	v_accvgpr_read_b32 v100, a3
	global_store_dwordx4 v100, v[96:99], s[0:1]
.LBB25_46:
	s_or_b64 exec, exec, s[2:3]
	s_nop 0
	v_sub_f32_e32 v97, v187, v197
	v_sub_f32_e32 v96, v186, v196
	;; [unrolled: 1-line block ×16, first 2 shown]
	s_and_saveexec_b64 s[2:3], vcc
	s_cbranch_execnz .LBB25_56
; %bb.47:
	s_or_b64 exec, exec, s[2:3]
	s_and_saveexec_b64 s[2:3], s[44:45]
	s_cbranch_execnz .LBB25_57
.LBB25_48:
	s_or_b64 exec, exec, s[2:3]
	s_and_saveexec_b64 s[2:3], s[4:5]
	s_cbranch_execnz .LBB25_58
.LBB25_49:
	s_or_b64 exec, exec, s[2:3]
	s_and_saveexec_b64 s[2:3], s[6:7]
	s_cbranch_execnz .LBB25_59
.LBB25_50:
	s_or_b64 exec, exec, s[2:3]
	s_and_saveexec_b64 s[2:3], s[10:11]
	s_cbranch_execnz .LBB25_60
.LBB25_51:
	s_or_b64 exec, exec, s[2:3]
	s_and_saveexec_b64 s[2:3], s[12:13]
	s_cbranch_execnz .LBB25_61
.LBB25_52:
	s_or_b64 exec, exec, s[2:3]
	s_and_saveexec_b64 s[2:3], s[16:17]
	s_cbranch_execnz .LBB25_62
.LBB25_53:
	s_or_b64 exec, exec, s[2:3]
	s_and_saveexec_b64 s[2:3], s[18:19]
	s_cbranch_execnz .LBB25_63
.LBB25_54:
	s_or_b64 exec, exec, s[2:3]
	s_and_saveexec_b64 s[2:3], s[22:23]
	s_cbranch_execnz .LBB25_64
.LBB25_55:
	s_endpgm
.LBB25_56:
	v_pk_add_f32 v[112:113], v[96:97], v[104:105]
	v_pk_add_f32 v[114:115], v[98:99], v[106:107]
	s_mov_b32 s8, s48
	s_mov_b32 s9, s48
	v_pk_mul_f32 v[112:113], s[8:9], v[112:113]
	v_pk_mul_f32 v[114:115], s[48:49], v[114:115]
	v_cvt_pk_f16_f32 v113, v112, v113
	v_cvt_pk_f16_f32 v112, v114, v115
	v_pk_add_f32 v[114:115], v[100:101], v[108:109]
	v_pk_add_f32 v[116:117], v[102:103], v[110:111]
	v_pk_mul_f32 v[114:115], s[8:9], v[114:115]
	v_pk_mul_f32 v[116:117], s[48:49], v[116:117]
	v_cvt_pk_f16_f32 v115, v114, v115
	v_cvt_pk_f16_f32 v114, v116, v117
	v_accvgpr_read_b32 v116, a0
	global_store_dwordx4 v116, v[112:115], s[0:1]
	s_or_b64 exec, exec, s[2:3]
	s_and_saveexec_b64 s[2:3], s[44:45]
	s_cbranch_execz .LBB25_48
.LBB25_57:
	v_accvgpr_read_b32 v113, a19
	v_accvgpr_read_b32 v115, a23
	;; [unrolled: 1-line block ×4, first 2 shown]
	v_sub_f32_e32 v113, v113, v115
	v_sub_f32_e32 v112, v112, v114
	v_accvgpr_read_b32 v115, a17
	v_accvgpr_read_b32 v117, a21
	;; [unrolled: 1-line block ×4, first 2 shown]
	v_sub_f32_e32 v115, v115, v117
	v_sub_f32_e32 v114, v114, v116
	s_mov_b32 s8, s48
	s_mov_b32 s9, s48
	v_pk_mul_f32 v[114:115], s[48:49], v[114:115]
	v_pk_mul_f32 v[112:113], s[8:9], v[112:113]
	v_accvgpr_read_b32 v117, a31
	v_cvt_pk_f16_f32 v113, v112, v113
	v_cvt_pk_f16_f32 v112, v114, v115
	v_accvgpr_read_b32 v115, a27
	v_accvgpr_read_b32 v114, a26
	;; [unrolled: 1-line block ×3, first 2 shown]
	v_sub_f32_e32 v115, v115, v117
	v_sub_f32_e32 v114, v114, v116
	v_accvgpr_read_b32 v117, a25
	v_accvgpr_read_b32 v119, a29
	;; [unrolled: 1-line block ×4, first 2 shown]
	v_sub_f32_e32 v117, v117, v119
	v_sub_f32_e32 v116, v116, v118
	v_pk_mul_f32 v[116:117], s[48:49], v[116:117]
	v_pk_mul_f32 v[114:115], s[8:9], v[114:115]
	s_nop 0
	v_cvt_pk_f16_f32 v115, v114, v115
	v_cvt_pk_f16_f32 v114, v116, v117
	v_accvgpr_read_b32 v116, a1
	global_store_dwordx4 v116, v[112:115], s[0:1]
	s_or_b64 exec, exec, s[2:3]
	s_and_saveexec_b64 s[2:3], s[4:5]
	s_cbranch_execz .LBB25_49
.LBB25_58:
	v_sub_f32_e32 v3, v3, v7
	v_sub_f32_e32 v2, v2, v6
	;; [unrolled: 1-line block ×4, first 2 shown]
	s_mov_b32 s4, s48
	s_mov_b32 s5, s48
	v_pk_mul_f32 v[4:5], s[48:49], v[0:1]
	v_pk_mul_f32 v[0:1], s[4:5], v[2:3]
	v_sub_f32_e32 v3, v11, v15
	v_cvt_pk_f16_f32 v1, v0, v1
	v_cvt_pk_f16_f32 v0, v4, v5
	v_sub_f32_e32 v2, v10, v14
	v_sub_f32_e32 v5, v9, v13
	;; [unrolled: 1-line block ×3, first 2 shown]
	v_pk_mul_f32 v[4:5], s[48:49], v[4:5]
	v_pk_mul_f32 v[2:3], s[4:5], v[2:3]
	s_nop 0
	v_cvt_pk_f16_f32 v3, v2, v3
	v_cvt_pk_f16_f32 v2, v4, v5
	v_accvgpr_read_b32 v4, a2
	global_store_dwordx4 v4, v[0:3], s[0:1]
	s_or_b64 exec, exec, s[2:3]
	s_and_saveexec_b64 s[2:3], s[6:7]
	s_cbranch_execz .LBB25_50
.LBB25_59:
	v_sub_f32_e32 v1, v17, v21
	v_sub_f32_e32 v0, v16, v20
	;; [unrolled: 1-line block ×4, first 2 shown]
	s_mov_b32 s4, s48
	s_mov_b32 s5, s48
	v_pk_mul_f32 v[2:3], s[48:49], v[2:3]
	v_pk_mul_f32 v[0:1], s[4:5], v[0:1]
	v_sub_f32_e32 v5, v27, v31
	v_cvt_pk_f16_f32 v1, v0, v1
	v_cvt_pk_f16_f32 v0, v2, v3
	v_sub_f32_e32 v3, v25, v29
	v_sub_f32_e32 v2, v24, v28
	;; [unrolled: 1-line block ×3, first 2 shown]
	v_pk_mul_f32 v[4:5], s[48:49], v[4:5]
	v_pk_mul_f32 v[2:3], s[4:5], v[2:3]
	s_nop 0
	v_cvt_pk_f16_f32 v3, v2, v3
	v_cvt_pk_f16_f32 v2, v4, v5
	v_accvgpr_read_b32 v4, a4
	global_store_dwordx4 v4, v[0:3], s[0:1]
	s_or_b64 exec, exec, s[2:3]
	s_and_saveexec_b64 s[2:3], s[10:11]
	s_cbranch_execz .LBB25_51
.LBB25_60:
	v_sub_f32_e32 v1, v33, v39
	v_sub_f32_e32 v0, v32, v38
	;; [unrolled: 1-line block ×4, first 2 shown]
	s_mov_b32 s4, s48
	s_mov_b32 s5, s48
	v_pk_mul_f32 v[2:3], s[48:49], v[2:3]
	v_pk_mul_f32 v[0:1], s[4:5], v[0:1]
	v_sub_f32_e32 v5, v41, v51
	v_cvt_pk_f16_f32 v1, v0, v1
	v_cvt_pk_f16_f32 v0, v2, v3
	v_sub_f32_e32 v3, v37, v47
	v_sub_f32_e32 v2, v36, v46
	;; [unrolled: 1-line block ×3, first 2 shown]
	v_pk_mul_f32 v[4:5], s[48:49], v[4:5]
	v_pk_mul_f32 v[2:3], s[4:5], v[2:3]
	s_nop 0
	v_cvt_pk_f16_f32 v3, v2, v3
	v_cvt_pk_f16_f32 v2, v4, v5
	v_accvgpr_read_b32 v4, a5
	global_store_dwordx4 v4, v[0:3], s[0:1]
	s_or_b64 exec, exec, s[2:3]
	s_and_saveexec_b64 s[2:3], s[12:13]
	s_cbranch_execz .LBB25_52
.LBB25_61:
	v_sub_f32_e32 v1, v65, v75
	v_sub_f32_e32 v0, v64, v74
	;; [unrolled: 1-line block ×4, first 2 shown]
	s_mov_b32 s4, s48
	s_mov_b32 s5, s48
	v_pk_mul_f32 v[2:3], s[48:49], v[2:3]
	v_pk_mul_f32 v[0:1], s[4:5], v[0:1]
	v_sub_f32_e32 v5, v61, v71
	v_cvt_pk_f16_f32 v1, v0, v1
	v_cvt_pk_f16_f32 v0, v2, v3
	v_sub_f32_e32 v3, v59, v69
	v_sub_f32_e32 v2, v58, v68
	;; [unrolled: 1-line block ×3, first 2 shown]
	v_pk_mul_f32 v[4:5], s[48:49], v[4:5]
	v_pk_mul_f32 v[2:3], s[4:5], v[2:3]
	s_nop 0
	v_cvt_pk_f16_f32 v3, v2, v3
	v_cvt_pk_f16_f32 v2, v4, v5
	v_accvgpr_read_b32 v4, a7
	global_store_dwordx4 v4, v[0:3], s[0:1]
	s_or_b64 exec, exec, s[2:3]
	s_and_saveexec_b64 s[2:3], s[16:17]
	s_cbranch_execz .LBB25_53
.LBB25_62:
	v_sub_f32_e32 v1, v53, v73
	v_sub_f32_e32 v0, v52, v72
	;; [unrolled: 1-line block ×4, first 2 shown]
	s_mov_b32 s4, s48
	s_mov_b32 s5, s48
	v_pk_mul_f32 v[2:3], s[48:49], v[2:3]
	v_pk_mul_f32 v[0:1], s[4:5], v[0:1]
	v_sub_f32_e32 v5, v49, v63
	v_cvt_pk_f16_f32 v1, v0, v1
	v_cvt_pk_f16_f32 v0, v2, v3
	v_sub_f32_e32 v3, v45, v57
	v_sub_f32_e32 v2, v44, v56
	;; [unrolled: 1-line block ×3, first 2 shown]
	v_pk_mul_f32 v[4:5], s[48:49], v[4:5]
	v_pk_mul_f32 v[2:3], s[4:5], v[2:3]
	s_nop 0
	v_cvt_pk_f16_f32 v3, v2, v3
	v_cvt_pk_f16_f32 v2, v4, v5
	v_accvgpr_read_b32 v4, a8
	v_mov_b32_e32 v5, 0
	v_lshl_add_u64 v[4:5], v[4:5], 4, s[0:1]
	global_store_dwordx4 v[4:5], v[0:3], off
	s_or_b64 exec, exec, s[2:3]
	s_and_saveexec_b64 s[2:3], s[18:19]
	s_cbranch_execz .LBB25_54
.LBB25_63:
	v_sub_f32_e32 v1, v85, v93
	v_sub_f32_e32 v0, v84, v92
	;; [unrolled: 1-line block ×4, first 2 shown]
	s_mov_b32 s4, s48
	s_mov_b32 s5, s48
	v_pk_mul_f32 v[2:3], s[48:49], v[2:3]
	v_pk_mul_f32 v[0:1], s[4:5], v[0:1]
	v_sub_f32_e32 v5, v83, v91
	v_cvt_pk_f16_f32 v1, v0, v1
	v_cvt_pk_f16_f32 v0, v2, v3
	v_sub_f32_e32 v3, v81, v89
	v_sub_f32_e32 v2, v80, v88
	;; [unrolled: 1-line block ×3, first 2 shown]
	v_pk_mul_f32 v[4:5], s[48:49], v[4:5]
	v_pk_mul_f32 v[2:3], s[4:5], v[2:3]
	s_nop 0
	v_cvt_pk_f16_f32 v3, v2, v3
	v_cvt_pk_f16_f32 v2, v4, v5
	v_accvgpr_read_b32 v4, a10
	v_mov_b32_e32 v5, 0
	v_lshl_add_u64 v[4:5], v[4:5], 4, s[0:1]
	global_store_dwordx4 v[4:5], v[0:3], off
	s_or_b64 exec, exec, s[2:3]
	s_and_saveexec_b64 s[2:3], s[22:23]
	s_cbranch_execz .LBB25_55
.LBB25_64:
	v_sub_f32_e32 v1, v97, v105
	v_sub_f32_e32 v0, v96, v104
	;; [unrolled: 1-line block ×4, first 2 shown]
	s_mov_b32 s2, s48
	s_mov_b32 s3, s48
	v_sub_f32_e32 v5, v101, v109
	v_sub_f32_e32 v4, v100, v108
	;; [unrolled: 1-line block ×4, first 2 shown]
	v_pk_mul_f32 v[2:3], s[48:49], v[2:3]
	v_pk_mul_f32 v[0:1], s[2:3], v[0:1]
	;; [unrolled: 1-line block ×3, first 2 shown]
	v_cvt_pk_f16_f32 v1, v0, v1
	v_cvt_pk_f16_f32 v0, v2, v3
	v_pk_mul_f32 v[2:3], s[2:3], v[4:5]
	v_accvgpr_read_b32 v4, a12
	v_mov_b32_e32 v5, 0
	v_cvt_pk_f16_f32 v3, v2, v3
	v_cvt_pk_f16_f32 v2, v6, v7
	v_lshl_add_u64 v[4:5], v[4:5], 4, s[0:1]
	global_store_dwordx4 v[4:5], v[0:3], off
	s_endpgm
	.section	.rodata,"a",@progbits
	.p2align	6, 0x0
	.amdhsa_kernel _Z30fast_hadamard_transform_kernelI37fast_hadamard_transform_kernel_traitsILi256ELi15E6__halfEEv18HadamardParamsBase
		.amdhsa_group_segment_fixed_size 0
		.amdhsa_private_segment_fixed_size 0
		.amdhsa_kernarg_size 312
		.amdhsa_user_sgpr_count 2
		.amdhsa_user_sgpr_dispatch_ptr 0
		.amdhsa_user_sgpr_queue_ptr 0
		.amdhsa_user_sgpr_kernarg_segment_ptr 1
		.amdhsa_user_sgpr_dispatch_id 0
		.amdhsa_user_sgpr_kernarg_preload_length 0
		.amdhsa_user_sgpr_kernarg_preload_offset 0
		.amdhsa_user_sgpr_private_segment_size 0
		.amdhsa_uses_dynamic_stack 0
		.amdhsa_enable_private_segment 0
		.amdhsa_system_sgpr_workgroup_id_x 1
		.amdhsa_system_sgpr_workgroup_id_y 0
		.amdhsa_system_sgpr_workgroup_id_z 0
		.amdhsa_system_sgpr_workgroup_info 0
		.amdhsa_system_vgpr_workitem_id 0
		.amdhsa_next_free_vgpr 288
		.amdhsa_next_free_sgpr 56
		.amdhsa_accum_offset 256
		.amdhsa_reserve_vcc 1
		.amdhsa_float_round_mode_32 0
		.amdhsa_float_round_mode_16_64 0
		.amdhsa_float_denorm_mode_32 3
		.amdhsa_float_denorm_mode_16_64 3
		.amdhsa_dx10_clamp 1
		.amdhsa_ieee_mode 1
		.amdhsa_fp16_overflow 0
		.amdhsa_tg_split 0
		.amdhsa_exception_fp_ieee_invalid_op 0
		.amdhsa_exception_fp_denorm_src 0
		.amdhsa_exception_fp_ieee_div_zero 0
		.amdhsa_exception_fp_ieee_overflow 0
		.amdhsa_exception_fp_ieee_underflow 0
		.amdhsa_exception_fp_ieee_inexact 0
		.amdhsa_exception_int_div_zero 0
	.end_amdhsa_kernel
	.section	.text._Z30fast_hadamard_transform_kernelI37fast_hadamard_transform_kernel_traitsILi256ELi15E6__halfEEv18HadamardParamsBase,"axG",@progbits,_Z30fast_hadamard_transform_kernelI37fast_hadamard_transform_kernel_traitsILi256ELi15E6__halfEEv18HadamardParamsBase,comdat
.Lfunc_end25:
	.size	_Z30fast_hadamard_transform_kernelI37fast_hadamard_transform_kernel_traitsILi256ELi15E6__halfEEv18HadamardParamsBase, .Lfunc_end25-_Z30fast_hadamard_transform_kernelI37fast_hadamard_transform_kernel_traitsILi256ELi15E6__halfEEv18HadamardParamsBase
                                        ; -- End function
	.set _Z30fast_hadamard_transform_kernelI37fast_hadamard_transform_kernel_traitsILi256ELi15E6__halfEEv18HadamardParamsBase.num_vgpr, 256
	.set _Z30fast_hadamard_transform_kernelI37fast_hadamard_transform_kernel_traitsILi256ELi15E6__halfEEv18HadamardParamsBase.num_agpr, 32
	.set _Z30fast_hadamard_transform_kernelI37fast_hadamard_transform_kernel_traitsILi256ELi15E6__halfEEv18HadamardParamsBase.numbered_sgpr, 56
	.set _Z30fast_hadamard_transform_kernelI37fast_hadamard_transform_kernel_traitsILi256ELi15E6__halfEEv18HadamardParamsBase.num_named_barrier, 0
	.set _Z30fast_hadamard_transform_kernelI37fast_hadamard_transform_kernel_traitsILi256ELi15E6__halfEEv18HadamardParamsBase.private_seg_size, 0
	.set _Z30fast_hadamard_transform_kernelI37fast_hadamard_transform_kernel_traitsILi256ELi15E6__halfEEv18HadamardParamsBase.uses_vcc, 1
	.set _Z30fast_hadamard_transform_kernelI37fast_hadamard_transform_kernel_traitsILi256ELi15E6__halfEEv18HadamardParamsBase.uses_flat_scratch, 0
	.set _Z30fast_hadamard_transform_kernelI37fast_hadamard_transform_kernel_traitsILi256ELi15E6__halfEEv18HadamardParamsBase.has_dyn_sized_stack, 0
	.set _Z30fast_hadamard_transform_kernelI37fast_hadamard_transform_kernel_traitsILi256ELi15E6__halfEEv18HadamardParamsBase.has_recursion, 0
	.set _Z30fast_hadamard_transform_kernelI37fast_hadamard_transform_kernel_traitsILi256ELi15E6__halfEEv18HadamardParamsBase.has_indirect_call, 0
	.section	.AMDGPU.csdata,"",@progbits
; Kernel info:
; codeLenInByte = 33404
; TotalNumSgprs: 62
; NumVgprs: 256
; NumAgprs: 32
; TotalNumVgprs: 288
; ScratchSize: 0
; MemoryBound: 0
; FloatMode: 240
; IeeeMode: 1
; LDSByteSize: 0 bytes/workgroup (compile time only)
; SGPRBlocks: 7
; VGPRBlocks: 35
; NumSGPRsForWavesPerEU: 62
; NumVGPRsForWavesPerEU: 288
; AccumOffset: 256
; Occupancy: 1
; WaveLimiterHint : 0
; COMPUTE_PGM_RSRC2:SCRATCH_EN: 0
; COMPUTE_PGM_RSRC2:USER_SGPR: 2
; COMPUTE_PGM_RSRC2:TRAP_HANDLER: 0
; COMPUTE_PGM_RSRC2:TGID_X_EN: 1
; COMPUTE_PGM_RSRC2:TGID_Y_EN: 0
; COMPUTE_PGM_RSRC2:TGID_Z_EN: 0
; COMPUTE_PGM_RSRC2:TIDIG_COMP_CNT: 0
; COMPUTE_PGM_RSRC3_GFX90A:ACCUM_OFFSET: 63
; COMPUTE_PGM_RSRC3_GFX90A:TG_SPLIT: 0
	.section	.text._Z30fast_hadamard_transform_kernelI37fast_hadamard_transform_kernel_traitsILi1ELi3E14__hip_bfloat16EEv18HadamardParamsBase,"axG",@progbits,_Z30fast_hadamard_transform_kernelI37fast_hadamard_transform_kernel_traitsILi1ELi3E14__hip_bfloat16EEv18HadamardParamsBase,comdat
	.protected	_Z30fast_hadamard_transform_kernelI37fast_hadamard_transform_kernel_traitsILi1ELi3E14__hip_bfloat16EEv18HadamardParamsBase ; -- Begin function _Z30fast_hadamard_transform_kernelI37fast_hadamard_transform_kernel_traitsILi1ELi3E14__hip_bfloat16EEv18HadamardParamsBase
	.globl	_Z30fast_hadamard_transform_kernelI37fast_hadamard_transform_kernel_traitsILi1ELi3E14__hip_bfloat16EEv18HadamardParamsBase
	.p2align	8
	.type	_Z30fast_hadamard_transform_kernelI37fast_hadamard_transform_kernel_traitsILi1ELi3E14__hip_bfloat16EEv18HadamardParamsBase,@function
_Z30fast_hadamard_transform_kernelI37fast_hadamard_transform_kernel_traitsILi1ELi3E14__hip_bfloat16EEv18HadamardParamsBase: ; @_Z30fast_hadamard_transform_kernelI37fast_hadamard_transform_kernel_traitsILi1ELi3E14__hip_bfloat16EEv18HadamardParamsBase
; %bb.0:
	s_load_dword s3, s[0:1], 0x4
	s_waitcnt lgkmcnt(0)
	s_cmp_eq_u32 s3, 0
	s_cbranch_scc1 .LBB26_2
; %bb.1:
	s_load_dwordx4 s[4:7], s[0:1], 0x10
	s_load_dword s12, s[0:1], 0x20
	s_load_dwordx4 s[8:11], s[0:1], 0x28
	s_ashr_i32 s3, s2, 31
	v_mov_b32_e32 v12, 0
	s_waitcnt lgkmcnt(0)
	s_mul_hi_u32 s0, s6, s2
	s_mul_i32 s1, s6, s3
	s_add_i32 s0, s0, s1
	s_mul_i32 s1, s7, s2
	s_add_i32 s1, s0, s1
	s_mul_i32 s0, s6, s2
	s_lshl_b64 s[0:1], s[0:1], 1
	s_add_u32 s6, s10, s0
	s_addc_u32 s7, s11, s1
	s_mul_hi_u32 s0, s4, s2
	s_mul_i32 s1, s4, s3
	s_add_i32 s0, s0, s1
	s_mul_i32 s1, s5, s2
	s_add_i32 s1, s0, s1
	s_mul_i32 s0, s4, s2
	s_lshl_b64 s[0:1], s[0:1], 1
	s_add_u32 s0, s8, s0
	s_addc_u32 s1, s9, s1
	s_load_dwordx4 s[0:3], s[0:1], 0x0
	s_waitcnt lgkmcnt(0)
	s_lshl_b32 s4, s0, 16
	s_and_b32 s0, s0, 0xffff0000
	s_lshl_b32 s5, s1, 16
	s_and_b32 s1, s1, 0xffff0000
	;; [unrolled: 2-line block ×4, first 2 shown]
	v_mov_b32_e32 v1, s0
	v_mov_b32_e32 v3, s1
	;; [unrolled: 1-line block ×4, first 2 shown]
	v_sub_f32_e32 v0, s4, v1
	v_add_f32_e32 v1, s4, v1
	v_sub_f32_e32 v2, s5, v3
	v_add_f32_e32 v3, s5, v3
	;; [unrolled: 2-line block ×4, first 2 shown]
	v_pk_add_f32 v[4:5], v[0:1], v[2:3] neg_lo:[0,1] neg_hi:[0,1]
	v_pk_add_f32 v[10:11], v[6:7], v[8:9] neg_lo:[0,1] neg_hi:[0,1]
	v_pk_add_f32 v[0:1], v[0:1], v[2:3]
	v_pk_add_f32 v[6:7], v[6:7], v[8:9]
	v_mov_b32_e32 v2, v0
	v_mov_b32_e32 v3, v5
	v_mov_b32_e32 v8, v6
	v_mov_b32_e32 v9, v11
	v_pk_add_f32 v[2:3], v[2:3], v[8:9]
	v_add_f32_e32 v13, v4, v10
	v_add_f32_e32 v8, v1, v7
	v_pk_mul_f32 v[2:3], s[12:13], v[2:3] op_sel_hi:[0,1]
	v_pk_add_f32 v[0:1], v[0:1], v[6:7] neg_lo:[0,1] neg_hi:[0,1]
	v_mul_f32_e32 v9, s12, v13
	v_cvt_pk_bf16_f32 v13, v2, v3
	v_mul_f32_e32 v2, s12, v8
	v_pk_mul_f32 v[0:1], s[12:13], v[0:1] op_sel:[0,1] op_sel_hi:[0,0]
	v_cvt_pk_bf16_f32 v8, v2, s0
	v_cvt_pk_bf16_f32 v2, v0, v1
	v_pk_add_f32 v[0:1], v[4:5], v[10:11] neg_lo:[0,1] neg_hi:[0,1]
	v_cvt_pk_bf16_f32 v9, v9, s0
	v_pk_mul_f32 v[0:1], s[12:13], v[0:1] op_sel:[0,1] op_sel_hi:[0,0]
	v_cvt_pk_bf16_f32 v3, v0, v1
	v_mov_b32_e32 v1, 0xffff
	v_and_b32_e32 v0, 0xffff, v8
	v_and_b32_sdwa v1, v1, v13 dst_sel:DWORD dst_unused:UNUSED_PAD src0_sel:DWORD src1_sel:WORD_1
	v_lshl_or_b32 v0, v13, 16, v0
	v_lshl_or_b32 v1, v9, 16, v1
	global_store_dwordx4 v12, v[0:3], s[6:7]
.LBB26_2:
	s_endpgm
	.section	.rodata,"a",@progbits
	.p2align	6, 0x0
	.amdhsa_kernel _Z30fast_hadamard_transform_kernelI37fast_hadamard_transform_kernel_traitsILi1ELi3E14__hip_bfloat16EEv18HadamardParamsBase
		.amdhsa_group_segment_fixed_size 0
		.amdhsa_private_segment_fixed_size 0
		.amdhsa_kernarg_size 56
		.amdhsa_user_sgpr_count 2
		.amdhsa_user_sgpr_dispatch_ptr 0
		.amdhsa_user_sgpr_queue_ptr 0
		.amdhsa_user_sgpr_kernarg_segment_ptr 1
		.amdhsa_user_sgpr_dispatch_id 0
		.amdhsa_user_sgpr_kernarg_preload_length 0
		.amdhsa_user_sgpr_kernarg_preload_offset 0
		.amdhsa_user_sgpr_private_segment_size 0
		.amdhsa_uses_dynamic_stack 0
		.amdhsa_enable_private_segment 0
		.amdhsa_system_sgpr_workgroup_id_x 1
		.amdhsa_system_sgpr_workgroup_id_y 0
		.amdhsa_system_sgpr_workgroup_id_z 0
		.amdhsa_system_sgpr_workgroup_info 0
		.amdhsa_system_vgpr_workitem_id 0
		.amdhsa_next_free_vgpr 14
		.amdhsa_next_free_sgpr 14
		.amdhsa_accum_offset 16
		.amdhsa_reserve_vcc 0
		.amdhsa_float_round_mode_32 0
		.amdhsa_float_round_mode_16_64 0
		.amdhsa_float_denorm_mode_32 3
		.amdhsa_float_denorm_mode_16_64 3
		.amdhsa_dx10_clamp 1
		.amdhsa_ieee_mode 1
		.amdhsa_fp16_overflow 0
		.amdhsa_tg_split 0
		.amdhsa_exception_fp_ieee_invalid_op 0
		.amdhsa_exception_fp_denorm_src 0
		.amdhsa_exception_fp_ieee_div_zero 0
		.amdhsa_exception_fp_ieee_overflow 0
		.amdhsa_exception_fp_ieee_underflow 0
		.amdhsa_exception_fp_ieee_inexact 0
		.amdhsa_exception_int_div_zero 0
	.end_amdhsa_kernel
	.section	.text._Z30fast_hadamard_transform_kernelI37fast_hadamard_transform_kernel_traitsILi1ELi3E14__hip_bfloat16EEv18HadamardParamsBase,"axG",@progbits,_Z30fast_hadamard_transform_kernelI37fast_hadamard_transform_kernel_traitsILi1ELi3E14__hip_bfloat16EEv18HadamardParamsBase,comdat
.Lfunc_end26:
	.size	_Z30fast_hadamard_transform_kernelI37fast_hadamard_transform_kernel_traitsILi1ELi3E14__hip_bfloat16EEv18HadamardParamsBase, .Lfunc_end26-_Z30fast_hadamard_transform_kernelI37fast_hadamard_transform_kernel_traitsILi1ELi3E14__hip_bfloat16EEv18HadamardParamsBase
                                        ; -- End function
	.set _Z30fast_hadamard_transform_kernelI37fast_hadamard_transform_kernel_traitsILi1ELi3E14__hip_bfloat16EEv18HadamardParamsBase.num_vgpr, 14
	.set _Z30fast_hadamard_transform_kernelI37fast_hadamard_transform_kernel_traitsILi1ELi3E14__hip_bfloat16EEv18HadamardParamsBase.num_agpr, 0
	.set _Z30fast_hadamard_transform_kernelI37fast_hadamard_transform_kernel_traitsILi1ELi3E14__hip_bfloat16EEv18HadamardParamsBase.numbered_sgpr, 14
	.set _Z30fast_hadamard_transform_kernelI37fast_hadamard_transform_kernel_traitsILi1ELi3E14__hip_bfloat16EEv18HadamardParamsBase.num_named_barrier, 0
	.set _Z30fast_hadamard_transform_kernelI37fast_hadamard_transform_kernel_traitsILi1ELi3E14__hip_bfloat16EEv18HadamardParamsBase.private_seg_size, 0
	.set _Z30fast_hadamard_transform_kernelI37fast_hadamard_transform_kernel_traitsILi1ELi3E14__hip_bfloat16EEv18HadamardParamsBase.uses_vcc, 0
	.set _Z30fast_hadamard_transform_kernelI37fast_hadamard_transform_kernel_traitsILi1ELi3E14__hip_bfloat16EEv18HadamardParamsBase.uses_flat_scratch, 0
	.set _Z30fast_hadamard_transform_kernelI37fast_hadamard_transform_kernel_traitsILi1ELi3E14__hip_bfloat16EEv18HadamardParamsBase.has_dyn_sized_stack, 0
	.set _Z30fast_hadamard_transform_kernelI37fast_hadamard_transform_kernel_traitsILi1ELi3E14__hip_bfloat16EEv18HadamardParamsBase.has_recursion, 0
	.set _Z30fast_hadamard_transform_kernelI37fast_hadamard_transform_kernel_traitsILi1ELi3E14__hip_bfloat16EEv18HadamardParamsBase.has_indirect_call, 0
	.section	.AMDGPU.csdata,"",@progbits
; Kernel info:
; codeLenInByte = 440
; TotalNumSgprs: 20
; NumVgprs: 14
; NumAgprs: 0
; TotalNumVgprs: 14
; ScratchSize: 0
; MemoryBound: 0
; FloatMode: 240
; IeeeMode: 1
; LDSByteSize: 0 bytes/workgroup (compile time only)
; SGPRBlocks: 2
; VGPRBlocks: 1
; NumSGPRsForWavesPerEU: 20
; NumVGPRsForWavesPerEU: 14
; AccumOffset: 16
; Occupancy: 8
; WaveLimiterHint : 0
; COMPUTE_PGM_RSRC2:SCRATCH_EN: 0
; COMPUTE_PGM_RSRC2:USER_SGPR: 2
; COMPUTE_PGM_RSRC2:TRAP_HANDLER: 0
; COMPUTE_PGM_RSRC2:TGID_X_EN: 1
; COMPUTE_PGM_RSRC2:TGID_Y_EN: 0
; COMPUTE_PGM_RSRC2:TGID_Z_EN: 0
; COMPUTE_PGM_RSRC2:TIDIG_COMP_CNT: 0
; COMPUTE_PGM_RSRC3_GFX90A:ACCUM_OFFSET: 3
; COMPUTE_PGM_RSRC3_GFX90A:TG_SPLIT: 0
	.section	.text._Z30fast_hadamard_transform_kernelI37fast_hadamard_transform_kernel_traitsILi2ELi4E14__hip_bfloat16EEv18HadamardParamsBase,"axG",@progbits,_Z30fast_hadamard_transform_kernelI37fast_hadamard_transform_kernel_traitsILi2ELi4E14__hip_bfloat16EEv18HadamardParamsBase,comdat
	.protected	_Z30fast_hadamard_transform_kernelI37fast_hadamard_transform_kernel_traitsILi2ELi4E14__hip_bfloat16EEv18HadamardParamsBase ; -- Begin function _Z30fast_hadamard_transform_kernelI37fast_hadamard_transform_kernel_traitsILi2ELi4E14__hip_bfloat16EEv18HadamardParamsBase
	.globl	_Z30fast_hadamard_transform_kernelI37fast_hadamard_transform_kernel_traitsILi2ELi4E14__hip_bfloat16EEv18HadamardParamsBase
	.p2align	8
	.type	_Z30fast_hadamard_transform_kernelI37fast_hadamard_transform_kernel_traitsILi2ELi4E14__hip_bfloat16EEv18HadamardParamsBase,@function
_Z30fast_hadamard_transform_kernelI37fast_hadamard_transform_kernel_traitsILi2ELi4E14__hip_bfloat16EEv18HadamardParamsBase: ; @_Z30fast_hadamard_transform_kernelI37fast_hadamard_transform_kernel_traitsILi2ELi4E14__hip_bfloat16EEv18HadamardParamsBase
; %bb.0:
	s_load_dword s4, s[0:1], 0x4
	v_lshlrev_b32_e32 v1, 3, v0
	v_mov_b32_e32 v2, 0
	s_ashr_i32 s3, s2, 31
	v_mov_b32_e32 v4, 0
	s_waitcnt lgkmcnt(0)
	v_cmp_gt_u32_e32 vcc, s4, v1
	v_lshlrev_b32_e32 v1, 4, v0
	v_mov_b32_e32 v3, v2
	v_mov_b32_e32 v5, v2
	;; [unrolled: 1-line block ×6, first 2 shown]
	s_and_saveexec_b64 s[4:5], vcc
	s_cbranch_execz .LBB27_2
; %bb.1:
	s_load_dwordx2 s[6:7], s[0:1], 0x10
	s_load_dwordx2 s[8:9], s[0:1], 0x28
	s_waitcnt lgkmcnt(0)
	s_mul_i32 s10, s6, s3
	s_mul_hi_u32 s11, s6, s2
	s_mul_i32 s7, s7, s2
	s_add_i32 s10, s11, s10
	s_mul_i32 s6, s6, s2
	s_add_i32 s7, s10, s7
	s_lshl_b64 s[6:7], s[6:7], 1
	s_add_u32 s6, s8, s6
	s_addc_u32 s7, s9, s7
	global_load_dwordx4 v[2:5], v1, s[6:7]
	s_waitcnt vmcnt(0)
	v_lshlrev_b32_e32 v6, 16, v2
	v_and_b32_e32 v8, 0xffff0000, v2
	v_lshlrev_b32_e32 v7, 16, v3
	v_and_b32_e32 v9, 0xffff0000, v3
	;; [unrolled: 2-line block ×4, first 2 shown]
.LBB27_2:
	s_or_b64 exec, exec, s[4:5]
	v_pk_add_f32 v[10:11], v[8:9], v[6:7]
	v_sub_f32_e32 v7, v7, v9
	v_sub_f32_e32 v9, v6, v8
	v_pk_add_f32 v[12:13], v[4:5], v[2:3]
	v_sub_f32_e32 v3, v3, v5
	v_sub_f32_e32 v5, v2, v4
	v_mov_b32_e32 v8, v10
	v_mov_b32_e32 v6, v11
	v_pk_add_f32 v[14:15], v[6:7], v[8:9]
	v_sub_f32_e32 v6, v10, v11
	v_sub_f32_e32 v7, v9, v7
	v_mov_b32_e32 v4, v12
	v_mov_b32_e32 v2, v13
	v_sub_f32_e32 v16, v12, v13
	v_sub_f32_e32 v17, v5, v3
	v_pk_add_f32 v[8:9], v[2:3], v[4:5]
	v_sub_f32_e32 v12, v6, v16
	v_pk_add_f32 v[4:5], v[16:17], v[6:7]
	v_mbcnt_lo_u32_b32 v6, -1, 0
	v_mbcnt_hi_u32_b32 v6, -1, v6
	v_sub_f32_e32 v10, v14, v8
	v_pk_add_f32 v[2:3], v[8:9], v[14:15]
	v_and_b32_e32 v8, 64, v6
	v_sub_f32_e32 v13, v7, v17
	v_xor_b32_e32 v7, 1, v6
	v_add_u32_e32 v8, 64, v8
	v_cmp_lt_i32_e64 s[4:5], v7, v8
	v_sub_f32_e32 v11, v15, v9
	s_nop 0
	v_cndmask_b32_e64 v6, v6, v7, s[4:5]
	v_lshlrev_b32_e32 v17, 2, v6
	ds_bpermute_b32 v8, v17, v2
	ds_bpermute_b32 v9, v17, v3
	;; [unrolled: 1-line block ×8, first 2 shown]
	s_and_saveexec_b64 s[4:5], vcc
	s_cbranch_execz .LBB27_4
; %bb.3:
	s_load_dwordx2 s[4:5], s[0:1], 0x18
	s_load_dwordx2 s[6:7], s[0:1], 0x30
	s_load_dword s8, s[0:1], 0x20
	v_cmp_eq_u32_e32 vcc, 0, v0
	s_waitcnt lgkmcnt(0)
	s_mul_i32 s0, s4, s3
	s_mul_hi_u32 s1, s4, s2
	s_mul_i32 s3, s5, s2
	s_add_i32 s0, s1, s0
	s_add_i32 s1, s0, s3
	s_mul_i32 s0, s4, s2
	v_cndmask_b32_e64 v0, -v13, v13, vcc
	v_cndmask_b32_e64 v12, -v12, v12, vcc
	;; [unrolled: 1-line block ×8, first 2 shown]
	s_lshl_b64 s[0:1], s[0:1], 1
	v_add_f32_e32 v0, v0, v17
	v_add_f32_e32 v12, v12, v16
	;; [unrolled: 1-line block ×4, first 2 shown]
	v_pk_add_f32 v[2:3], v[2:3], v[8:9]
	v_pk_add_f32 v[4:5], v[4:5], v[6:7]
	s_add_u32 s0, s6, s0
	v_mul_f32_e32 v0, s8, v0
	v_mul_f32_e32 v12, s8, v12
	;; [unrolled: 1-line block ×4, first 2 shown]
	v_pk_mul_f32 v[4:5], s[8:9], v[4:5] op_sel_hi:[0,1]
	v_pk_mul_f32 v[6:7], s[8:9], v[2:3] op_sel_hi:[0,1]
	s_addc_u32 s1, s7, s1
	v_cvt_pk_bf16_f32 v3, v4, v5
	v_cvt_pk_bf16_f32 v2, v6, v7
	;; [unrolled: 1-line block ×4, first 2 shown]
	global_store_dwordx4 v1, v[2:5], s[0:1]
.LBB27_4:
	s_endpgm
	.section	.rodata,"a",@progbits
	.p2align	6, 0x0
	.amdhsa_kernel _Z30fast_hadamard_transform_kernelI37fast_hadamard_transform_kernel_traitsILi2ELi4E14__hip_bfloat16EEv18HadamardParamsBase
		.amdhsa_group_segment_fixed_size 0
		.amdhsa_private_segment_fixed_size 0
		.amdhsa_kernarg_size 56
		.amdhsa_user_sgpr_count 2
		.amdhsa_user_sgpr_dispatch_ptr 0
		.amdhsa_user_sgpr_queue_ptr 0
		.amdhsa_user_sgpr_kernarg_segment_ptr 1
		.amdhsa_user_sgpr_dispatch_id 0
		.amdhsa_user_sgpr_kernarg_preload_length 0
		.amdhsa_user_sgpr_kernarg_preload_offset 0
		.amdhsa_user_sgpr_private_segment_size 0
		.amdhsa_uses_dynamic_stack 0
		.amdhsa_enable_private_segment 0
		.amdhsa_system_sgpr_workgroup_id_x 1
		.amdhsa_system_sgpr_workgroup_id_y 0
		.amdhsa_system_sgpr_workgroup_id_z 0
		.amdhsa_system_sgpr_workgroup_info 0
		.amdhsa_system_vgpr_workitem_id 0
		.amdhsa_next_free_vgpr 18
		.amdhsa_next_free_sgpr 12
		.amdhsa_accum_offset 20
		.amdhsa_reserve_vcc 1
		.amdhsa_float_round_mode_32 0
		.amdhsa_float_round_mode_16_64 0
		.amdhsa_float_denorm_mode_32 3
		.amdhsa_float_denorm_mode_16_64 3
		.amdhsa_dx10_clamp 1
		.amdhsa_ieee_mode 1
		.amdhsa_fp16_overflow 0
		.amdhsa_tg_split 0
		.amdhsa_exception_fp_ieee_invalid_op 0
		.amdhsa_exception_fp_denorm_src 0
		.amdhsa_exception_fp_ieee_div_zero 0
		.amdhsa_exception_fp_ieee_overflow 0
		.amdhsa_exception_fp_ieee_underflow 0
		.amdhsa_exception_fp_ieee_inexact 0
		.amdhsa_exception_int_div_zero 0
	.end_amdhsa_kernel
	.section	.text._Z30fast_hadamard_transform_kernelI37fast_hadamard_transform_kernel_traitsILi2ELi4E14__hip_bfloat16EEv18HadamardParamsBase,"axG",@progbits,_Z30fast_hadamard_transform_kernelI37fast_hadamard_transform_kernel_traitsILi2ELi4E14__hip_bfloat16EEv18HadamardParamsBase,comdat
.Lfunc_end27:
	.size	_Z30fast_hadamard_transform_kernelI37fast_hadamard_transform_kernel_traitsILi2ELi4E14__hip_bfloat16EEv18HadamardParamsBase, .Lfunc_end27-_Z30fast_hadamard_transform_kernelI37fast_hadamard_transform_kernel_traitsILi2ELi4E14__hip_bfloat16EEv18HadamardParamsBase
                                        ; -- End function
	.set _Z30fast_hadamard_transform_kernelI37fast_hadamard_transform_kernel_traitsILi2ELi4E14__hip_bfloat16EEv18HadamardParamsBase.num_vgpr, 18
	.set _Z30fast_hadamard_transform_kernelI37fast_hadamard_transform_kernel_traitsILi2ELi4E14__hip_bfloat16EEv18HadamardParamsBase.num_agpr, 0
	.set _Z30fast_hadamard_transform_kernelI37fast_hadamard_transform_kernel_traitsILi2ELi4E14__hip_bfloat16EEv18HadamardParamsBase.numbered_sgpr, 12
	.set _Z30fast_hadamard_transform_kernelI37fast_hadamard_transform_kernel_traitsILi2ELi4E14__hip_bfloat16EEv18HadamardParamsBase.num_named_barrier, 0
	.set _Z30fast_hadamard_transform_kernelI37fast_hadamard_transform_kernel_traitsILi2ELi4E14__hip_bfloat16EEv18HadamardParamsBase.private_seg_size, 0
	.set _Z30fast_hadamard_transform_kernelI37fast_hadamard_transform_kernel_traitsILi2ELi4E14__hip_bfloat16EEv18HadamardParamsBase.uses_vcc, 1
	.set _Z30fast_hadamard_transform_kernelI37fast_hadamard_transform_kernel_traitsILi2ELi4E14__hip_bfloat16EEv18HadamardParamsBase.uses_flat_scratch, 0
	.set _Z30fast_hadamard_transform_kernelI37fast_hadamard_transform_kernel_traitsILi2ELi4E14__hip_bfloat16EEv18HadamardParamsBase.has_dyn_sized_stack, 0
	.set _Z30fast_hadamard_transform_kernelI37fast_hadamard_transform_kernel_traitsILi2ELi4E14__hip_bfloat16EEv18HadamardParamsBase.has_recursion, 0
	.set _Z30fast_hadamard_transform_kernelI37fast_hadamard_transform_kernel_traitsILi2ELi4E14__hip_bfloat16EEv18HadamardParamsBase.has_indirect_call, 0
	.section	.AMDGPU.csdata,"",@progbits
; Kernel info:
; codeLenInByte = 664
; TotalNumSgprs: 18
; NumVgprs: 18
; NumAgprs: 0
; TotalNumVgprs: 18
; ScratchSize: 0
; MemoryBound: 0
; FloatMode: 240
; IeeeMode: 1
; LDSByteSize: 0 bytes/workgroup (compile time only)
; SGPRBlocks: 2
; VGPRBlocks: 2
; NumSGPRsForWavesPerEU: 18
; NumVGPRsForWavesPerEU: 18
; AccumOffset: 20
; Occupancy: 8
; WaveLimiterHint : 0
; COMPUTE_PGM_RSRC2:SCRATCH_EN: 0
; COMPUTE_PGM_RSRC2:USER_SGPR: 2
; COMPUTE_PGM_RSRC2:TRAP_HANDLER: 0
; COMPUTE_PGM_RSRC2:TGID_X_EN: 1
; COMPUTE_PGM_RSRC2:TGID_Y_EN: 0
; COMPUTE_PGM_RSRC2:TGID_Z_EN: 0
; COMPUTE_PGM_RSRC2:TIDIG_COMP_CNT: 0
; COMPUTE_PGM_RSRC3_GFX90A:ACCUM_OFFSET: 4
; COMPUTE_PGM_RSRC3_GFX90A:TG_SPLIT: 0
	.section	.text._Z30fast_hadamard_transform_kernelI37fast_hadamard_transform_kernel_traitsILi4ELi5E14__hip_bfloat16EEv18HadamardParamsBase,"axG",@progbits,_Z30fast_hadamard_transform_kernelI37fast_hadamard_transform_kernel_traitsILi4ELi5E14__hip_bfloat16EEv18HadamardParamsBase,comdat
	.protected	_Z30fast_hadamard_transform_kernelI37fast_hadamard_transform_kernel_traitsILi4ELi5E14__hip_bfloat16EEv18HadamardParamsBase ; -- Begin function _Z30fast_hadamard_transform_kernelI37fast_hadamard_transform_kernel_traitsILi4ELi5E14__hip_bfloat16EEv18HadamardParamsBase
	.globl	_Z30fast_hadamard_transform_kernelI37fast_hadamard_transform_kernel_traitsILi4ELi5E14__hip_bfloat16EEv18HadamardParamsBase
	.p2align	8
	.type	_Z30fast_hadamard_transform_kernelI37fast_hadamard_transform_kernel_traitsILi4ELi5E14__hip_bfloat16EEv18HadamardParamsBase,@function
_Z30fast_hadamard_transform_kernelI37fast_hadamard_transform_kernel_traitsILi4ELi5E14__hip_bfloat16EEv18HadamardParamsBase: ; @_Z30fast_hadamard_transform_kernelI37fast_hadamard_transform_kernel_traitsILi4ELi5E14__hip_bfloat16EEv18HadamardParamsBase
; %bb.0:
	s_load_dword s4, s[0:1], 0x4
	v_lshlrev_b32_e32 v1, 3, v0
	v_mov_b32_e32 v2, 0
	s_ashr_i32 s3, s2, 31
	v_mov_b32_e32 v3, v2
	s_waitcnt lgkmcnt(0)
	v_cmp_gt_u32_e32 vcc, s4, v1
	v_lshlrev_b32_e32 v1, 4, v0
	v_mov_b32_e32 v4, v2
	v_mov_b32_e32 v5, v2
	v_mov_b32_e32 v6, v2
	v_mov_b32_e32 v7, v2
	v_mov_b32_e32 v8, v2
	v_mov_b32_e32 v9, v2
	s_and_saveexec_b64 s[4:5], vcc
	s_cbranch_execz .LBB28_2
; %bb.1:
	s_load_dwordx2 s[6:7], s[0:1], 0x10
	s_load_dwordx2 s[8:9], s[0:1], 0x28
	s_waitcnt lgkmcnt(0)
	s_mul_i32 s10, s6, s3
	s_mul_hi_u32 s11, s6, s2
	s_mul_i32 s7, s7, s2
	s_add_i32 s10, s11, s10
	s_mul_i32 s6, s6, s2
	s_add_i32 s7, s10, s7
	s_lshl_b64 s[6:7], s[6:7], 1
	s_add_u32 s6, s8, s6
	s_addc_u32 s7, s9, s7
	global_load_dwordx4 v[10:13], v1, s[6:7]
	s_waitcnt vmcnt(0)
	v_lshlrev_b32_e32 v8, 16, v10
	v_and_b32_e32 v9, 0xffff0000, v10
	v_lshlrev_b32_e32 v6, 16, v11
	v_and_b32_e32 v7, 0xffff0000, v11
	;; [unrolled: 2-line block ×4, first 2 shown]
.LBB28_2:
	s_or_b64 exec, exec, s[4:5]
	v_pk_add_f32 v[10:11], v[8:9], v[8:9] op_sel:[0,1]
	v_pk_add_f32 v[8:9], v[8:9], v[8:9] op_sel_hi:[0,1] neg_lo:[0,1] neg_hi:[0,1]
	v_mov_b32_e32 v11, v9
	v_pk_add_f32 v[8:9], v[6:7], v[6:7] op_sel:[0,1]
	v_pk_add_f32 v[6:7], v[6:7], v[6:7] op_sel_hi:[0,1] neg_lo:[0,1] neg_hi:[0,1]
	v_mov_b32_e32 v9, v7
	;; [unrolled: 3-line block ×3, first 2 shown]
	v_pk_add_f32 v[4:5], v[2:3], v[2:3] op_sel:[0,1]
	v_pk_add_f32 v[2:3], v[2:3], v[2:3] op_sel_hi:[0,1] neg_lo:[0,1] neg_hi:[0,1]
	v_mbcnt_lo_u32_b32 v2, -1, 0
	v_mbcnt_hi_u32_b32 v16, -1, v2
	v_and_b32_e32 v2, 64, v16
	v_add_u32_e32 v17, 64, v2
	v_xor_b32_e32 v2, 1, v16
	v_cmp_lt_i32_e64 s[4:5], v2, v17
	v_mov_b32_e32 v5, v3
	v_pk_add_f32 v[12:13], v[6:7], v[4:5] neg_lo:[0,1] neg_hi:[0,1]
	v_cndmask_b32_e64 v2, v16, v2, s[4:5]
	v_lshlrev_b32_e32 v19, 2, v2
	v_pk_add_f32 v[2:3], v[10:11], v[8:9] neg_lo:[0,1] neg_hi:[0,1]
	v_pk_add_f32 v[8:9], v[8:9], v[10:11]
	v_pk_add_f32 v[4:5], v[4:5], v[6:7]
	v_and_b32_e32 v18, 1, v0
	v_pk_add_f32 v[6:7], v[4:5], v[8:9]
	ds_bpermute_b32 v10, v19, v6
	ds_bpermute_b32 v11, v19, v7
	v_cmp_eq_u32_e64 s[4:5], 0, v18
	v_pk_add_f32 v[4:5], v[8:9], v[4:5] neg_lo:[0,1] neg_hi:[0,1]
	v_pk_add_f32 v[14:15], v[2:3], v[12:13] neg_lo:[0,1] neg_hi:[0,1]
	v_cndmask_b32_e64 v6, -v6, v6, s[4:5]
	s_waitcnt lgkmcnt(1)
	v_add_f32_e32 v10, v6, v10
	v_cndmask_b32_e64 v6, -v7, v7, s[4:5]
	v_pk_add_f32 v[2:3], v[12:13], v[2:3]
	s_waitcnt lgkmcnt(0)
	v_add_f32_e32 v11, v6, v11
	ds_bpermute_b32 v6, v19, v4
	ds_bpermute_b32 v7, v19, v5
	;; [unrolled: 1-line block ×6, first 2 shown]
	v_cndmask_b32_e64 v5, -v5, v5, s[4:5]
	v_cndmask_b32_e64 v4, -v4, v4, s[4:5]
	;; [unrolled: 1-line block ×4, first 2 shown]
	s_waitcnt lgkmcnt(4)
	v_pk_add_f32 v[4:5], v[4:5], v[6:7]
	v_cndmask_b32_e64 v6, -v14, v14, s[4:5]
	s_waitcnt lgkmcnt(2)
	v_pk_add_f32 v[2:3], v[2:3], v[12:13]
	s_waitcnt lgkmcnt(1)
	v_add_f32_e32 v13, v6, v8
	v_cndmask_b32_e64 v6, -v15, v15, s[4:5]
	s_waitcnt lgkmcnt(0)
	v_add_f32_e32 v15, v6, v9
	v_xor_b32_e32 v6, 2, v16
	v_cmp_lt_i32_e64 s[4:5], v6, v17
	s_nop 1
	v_cndmask_b32_e64 v6, v16, v6, s[4:5]
	v_lshlrev_b32_e32 v17, 2, v6
	ds_bpermute_b32 v12, v17, v10
	ds_bpermute_b32 v14, v17, v11
	ds_bpermute_b32 v8, v17, v2
	ds_bpermute_b32 v9, v17, v3
	ds_bpermute_b32 v6, v17, v4
	ds_bpermute_b32 v7, v17, v5
	ds_bpermute_b32 v16, v17, v13
	ds_bpermute_b32 v17, v17, v15
	s_and_saveexec_b64 s[4:5], vcc
	s_cbranch_execz .LBB28_4
; %bb.3:
	s_load_dwordx2 s[4:5], s[0:1], 0x18
	s_load_dwordx2 s[6:7], s[0:1], 0x30
	s_load_dword s8, s[0:1], 0x20
	v_and_b32_e32 v0, 2, v0
	v_cmp_eq_u32_e32 vcc, 0, v0
	s_waitcnt lgkmcnt(0)
	s_mul_i32 s0, s4, s3
	s_mul_hi_u32 s1, s4, s2
	s_mul_i32 s3, s5, s2
	s_add_i32 s0, s1, s0
	s_add_i32 s1, s0, s3
	s_mul_i32 s0, s4, s2
	v_cndmask_b32_e64 v0, -v15, v15, vcc
	v_cndmask_b32_e64 v13, -v13, v13, vcc
	;; [unrolled: 1-line block ×8, first 2 shown]
	s_lshl_b64 s[0:1], s[0:1], 1
	v_add_f32_e32 v0, v0, v17
	v_add_f32_e32 v13, v13, v16
	;; [unrolled: 1-line block ×4, first 2 shown]
	v_pk_add_f32 v[2:3], v[2:3], v[8:9]
	v_pk_add_f32 v[4:5], v[4:5], v[6:7]
	s_add_u32 s0, s6, s0
	v_mul_f32_e32 v0, s8, v0
	v_mul_f32_e32 v12, s8, v13
	;; [unrolled: 1-line block ×4, first 2 shown]
	v_pk_mul_f32 v[2:3], s[8:9], v[2:3] op_sel_hi:[0,1]
	v_pk_mul_f32 v[4:5], s[8:9], v[4:5] op_sel_hi:[0,1]
	s_addc_u32 s1, s7, s1
	v_cvt_pk_bf16_f32 v3, v2, v3
	v_cvt_pk_bf16_f32 v4, v4, v5
	;; [unrolled: 1-line block ×4, first 2 shown]
	global_store_dwordx4 v1, v[2:5], s[0:1]
.LBB28_4:
	s_endpgm
	.section	.rodata,"a",@progbits
	.p2align	6, 0x0
	.amdhsa_kernel _Z30fast_hadamard_transform_kernelI37fast_hadamard_transform_kernel_traitsILi4ELi5E14__hip_bfloat16EEv18HadamardParamsBase
		.amdhsa_group_segment_fixed_size 0
		.amdhsa_private_segment_fixed_size 0
		.amdhsa_kernarg_size 56
		.amdhsa_user_sgpr_count 2
		.amdhsa_user_sgpr_dispatch_ptr 0
		.amdhsa_user_sgpr_queue_ptr 0
		.amdhsa_user_sgpr_kernarg_segment_ptr 1
		.amdhsa_user_sgpr_dispatch_id 0
		.amdhsa_user_sgpr_kernarg_preload_length 0
		.amdhsa_user_sgpr_kernarg_preload_offset 0
		.amdhsa_user_sgpr_private_segment_size 0
		.amdhsa_uses_dynamic_stack 0
		.amdhsa_enable_private_segment 0
		.amdhsa_system_sgpr_workgroup_id_x 1
		.amdhsa_system_sgpr_workgroup_id_y 0
		.amdhsa_system_sgpr_workgroup_id_z 0
		.amdhsa_system_sgpr_workgroup_info 0
		.amdhsa_system_vgpr_workitem_id 0
		.amdhsa_next_free_vgpr 20
		.amdhsa_next_free_sgpr 12
		.amdhsa_accum_offset 20
		.amdhsa_reserve_vcc 1
		.amdhsa_float_round_mode_32 0
		.amdhsa_float_round_mode_16_64 0
		.amdhsa_float_denorm_mode_32 3
		.amdhsa_float_denorm_mode_16_64 3
		.amdhsa_dx10_clamp 1
		.amdhsa_ieee_mode 1
		.amdhsa_fp16_overflow 0
		.amdhsa_tg_split 0
		.amdhsa_exception_fp_ieee_invalid_op 0
		.amdhsa_exception_fp_denorm_src 0
		.amdhsa_exception_fp_ieee_div_zero 0
		.amdhsa_exception_fp_ieee_overflow 0
		.amdhsa_exception_fp_ieee_underflow 0
		.amdhsa_exception_fp_ieee_inexact 0
		.amdhsa_exception_int_div_zero 0
	.end_amdhsa_kernel
	.section	.text._Z30fast_hadamard_transform_kernelI37fast_hadamard_transform_kernel_traitsILi4ELi5E14__hip_bfloat16EEv18HadamardParamsBase,"axG",@progbits,_Z30fast_hadamard_transform_kernelI37fast_hadamard_transform_kernel_traitsILi4ELi5E14__hip_bfloat16EEv18HadamardParamsBase,comdat
.Lfunc_end28:
	.size	_Z30fast_hadamard_transform_kernelI37fast_hadamard_transform_kernel_traitsILi4ELi5E14__hip_bfloat16EEv18HadamardParamsBase, .Lfunc_end28-_Z30fast_hadamard_transform_kernelI37fast_hadamard_transform_kernel_traitsILi4ELi5E14__hip_bfloat16EEv18HadamardParamsBase
                                        ; -- End function
	.set _Z30fast_hadamard_transform_kernelI37fast_hadamard_transform_kernel_traitsILi4ELi5E14__hip_bfloat16EEv18HadamardParamsBase.num_vgpr, 20
	.set _Z30fast_hadamard_transform_kernelI37fast_hadamard_transform_kernel_traitsILi4ELi5E14__hip_bfloat16EEv18HadamardParamsBase.num_agpr, 0
	.set _Z30fast_hadamard_transform_kernelI37fast_hadamard_transform_kernel_traitsILi4ELi5E14__hip_bfloat16EEv18HadamardParamsBase.numbered_sgpr, 12
	.set _Z30fast_hadamard_transform_kernelI37fast_hadamard_transform_kernel_traitsILi4ELi5E14__hip_bfloat16EEv18HadamardParamsBase.num_named_barrier, 0
	.set _Z30fast_hadamard_transform_kernelI37fast_hadamard_transform_kernel_traitsILi4ELi5E14__hip_bfloat16EEv18HadamardParamsBase.private_seg_size, 0
	.set _Z30fast_hadamard_transform_kernelI37fast_hadamard_transform_kernel_traitsILi4ELi5E14__hip_bfloat16EEv18HadamardParamsBase.uses_vcc, 1
	.set _Z30fast_hadamard_transform_kernelI37fast_hadamard_transform_kernel_traitsILi4ELi5E14__hip_bfloat16EEv18HadamardParamsBase.uses_flat_scratch, 0
	.set _Z30fast_hadamard_transform_kernelI37fast_hadamard_transform_kernel_traitsILi4ELi5E14__hip_bfloat16EEv18HadamardParamsBase.has_dyn_sized_stack, 0
	.set _Z30fast_hadamard_transform_kernelI37fast_hadamard_transform_kernel_traitsILi4ELi5E14__hip_bfloat16EEv18HadamardParamsBase.has_recursion, 0
	.set _Z30fast_hadamard_transform_kernelI37fast_hadamard_transform_kernel_traitsILi4ELi5E14__hip_bfloat16EEv18HadamardParamsBase.has_indirect_call, 0
	.section	.AMDGPU.csdata,"",@progbits
; Kernel info:
; codeLenInByte = 920
; TotalNumSgprs: 18
; NumVgprs: 20
; NumAgprs: 0
; TotalNumVgprs: 20
; ScratchSize: 0
; MemoryBound: 0
; FloatMode: 240
; IeeeMode: 1
; LDSByteSize: 0 bytes/workgroup (compile time only)
; SGPRBlocks: 2
; VGPRBlocks: 2
; NumSGPRsForWavesPerEU: 18
; NumVGPRsForWavesPerEU: 20
; AccumOffset: 20
; Occupancy: 8
; WaveLimiterHint : 0
; COMPUTE_PGM_RSRC2:SCRATCH_EN: 0
; COMPUTE_PGM_RSRC2:USER_SGPR: 2
; COMPUTE_PGM_RSRC2:TRAP_HANDLER: 0
; COMPUTE_PGM_RSRC2:TGID_X_EN: 1
; COMPUTE_PGM_RSRC2:TGID_Y_EN: 0
; COMPUTE_PGM_RSRC2:TGID_Z_EN: 0
; COMPUTE_PGM_RSRC2:TIDIG_COMP_CNT: 0
; COMPUTE_PGM_RSRC3_GFX90A:ACCUM_OFFSET: 4
; COMPUTE_PGM_RSRC3_GFX90A:TG_SPLIT: 0
	.section	.text._Z30fast_hadamard_transform_kernelI37fast_hadamard_transform_kernel_traitsILi8ELi6E14__hip_bfloat16EEv18HadamardParamsBase,"axG",@progbits,_Z30fast_hadamard_transform_kernelI37fast_hadamard_transform_kernel_traitsILi8ELi6E14__hip_bfloat16EEv18HadamardParamsBase,comdat
	.protected	_Z30fast_hadamard_transform_kernelI37fast_hadamard_transform_kernel_traitsILi8ELi6E14__hip_bfloat16EEv18HadamardParamsBase ; -- Begin function _Z30fast_hadamard_transform_kernelI37fast_hadamard_transform_kernel_traitsILi8ELi6E14__hip_bfloat16EEv18HadamardParamsBase
	.globl	_Z30fast_hadamard_transform_kernelI37fast_hadamard_transform_kernel_traitsILi8ELi6E14__hip_bfloat16EEv18HadamardParamsBase
	.p2align	8
	.type	_Z30fast_hadamard_transform_kernelI37fast_hadamard_transform_kernel_traitsILi8ELi6E14__hip_bfloat16EEv18HadamardParamsBase,@function
_Z30fast_hadamard_transform_kernelI37fast_hadamard_transform_kernel_traitsILi8ELi6E14__hip_bfloat16EEv18HadamardParamsBase: ; @_Z30fast_hadamard_transform_kernelI37fast_hadamard_transform_kernel_traitsILi8ELi6E14__hip_bfloat16EEv18HadamardParamsBase
; %bb.0:
	s_load_dword s4, s[0:1], 0x4
	v_lshlrev_b32_e32 v1, 3, v0
	v_mov_b32_e32 v3, 0
	s_ashr_i32 s3, s2, 31
	v_mov_b32_e32 v2, v3
	s_waitcnt lgkmcnt(0)
	v_cmp_gt_u32_e32 vcc, s4, v1
	v_lshlrev_b32_e32 v1, 4, v0
	v_mov_b32_e32 v6, v3
	v_mov_b32_e32 v7, v3
	;; [unrolled: 1-line block ×6, first 2 shown]
	s_and_saveexec_b64 s[4:5], vcc
	s_cbranch_execz .LBB29_2
; %bb.1:
	s_load_dwordx2 s[6:7], s[0:1], 0x10
	s_load_dwordx2 s[8:9], s[0:1], 0x28
	s_waitcnt lgkmcnt(0)
	s_mul_i32 s10, s6, s3
	s_mul_hi_u32 s11, s6, s2
	s_mul_i32 s7, s7, s2
	s_add_i32 s10, s11, s10
	s_mul_i32 s6, s6, s2
	s_add_i32 s7, s10, s7
	s_lshl_b64 s[6:7], s[6:7], 1
	s_add_u32 s6, s8, s6
	s_addc_u32 s7, s9, s7
	global_load_dwordx4 v[10:13], v1, s[6:7]
	s_waitcnt vmcnt(0)
	v_lshlrev_b32_e32 v8, 16, v10
	v_and_b32_e32 v9, 0xffff0000, v10
	v_lshlrev_b32_e32 v5, 16, v11
	v_and_b32_e32 v4, 0xffff0000, v11
	;; [unrolled: 2-line block ×4, first 2 shown]
.LBB29_2:
	s_or_b64 exec, exec, s[4:5]
	v_add_f32_e32 v12, v9, v8
	v_sub_f32_e32 v13, v8, v9
	v_mov_b32_e32 v8, v3
	v_mov_b32_e32 v9, v2
	v_pk_add_f32 v[8:9], v[8:9], v[2:3]
	v_sub_f32_e32 v2, v3, v2
	v_mbcnt_lo_u32_b32 v3, -1, 0
	v_mbcnt_hi_u32_b32 v16, -1, v3
	v_and_b32_e32 v3, 64, v16
	v_add_u32_e32 v17, 64, v3
	v_xor_b32_e32 v3, 1, v16
	v_cmp_lt_i32_e64 s[4:5], v3, v17
	v_mov_b32_e32 v10, v5
	v_mov_b32_e32 v11, v4
	v_cndmask_b32_e64 v3, v16, v3, s[4:5]
	v_lshlrev_b32_e32 v19, 2, v3
	v_xor_b32_e32 v3, 2, v16
	v_cmp_lt_i32_e64 s[4:5], v3, v17
	v_pk_add_f32 v[10:11], v[10:11], v[4:5]
	v_sub_f32_e32 v4, v5, v4
	v_cndmask_b32_e64 v3, v16, v3, s[4:5]
	v_add_f32_e32 v14, v7, v6
	v_sub_f32_e32 v15, v6, v7
	v_pk_mov_b32 v[6:7], v[10:11], v[4:5] op_sel:[1,0]
	v_sub_f32_e32 v5, v13, v4
	v_sub_f32_e32 v4, v12, v11
	v_pk_mov_b32 v[10:11], v[8:9], v[2:3] op_sel:[1,0]
	v_pk_add_f32 v[6:7], v[6:7], v[12:13]
	v_pk_add_f32 v[10:11], v[10:11], v[14:15]
	v_lshlrev_b32_e32 v21, 2, v3
	v_sub_f32_e32 v3, v15, v2
	v_sub_f32_e32 v2, v14, v9
	;; [unrolled: 1-line block ×4, first 2 shown]
	v_pk_add_f32 v[6:7], v[10:11], v[6:7]
	v_sub_f32_e32 v14, v4, v2
	v_pk_add_f32 v[8:9], v[2:3], v[4:5]
	v_sub_f32_e32 v10, v5, v3
	ds_bpermute_b32 v2, v19, v6
	ds_bpermute_b32 v3, v19, v7
	;; [unrolled: 1-line block ×3, first 2 shown]
	v_and_b32_e32 v18, 1, v0
	ds_bpermute_b32 v4, v19, v8
	ds_bpermute_b32 v5, v19, v9
	v_cmp_eq_u32_e64 s[4:5], 0, v18
	v_and_b32_e32 v20, 2, v0
	s_nop 0
	v_cndmask_b32_e64 v7, -v7, v7, s[4:5]
	v_cndmask_b32_e64 v6, -v6, v6, s[4:5]
	s_waitcnt lgkmcnt(3)
	v_pk_add_f32 v[2:3], v[6:7], v[2:3]
	v_cndmask_b32_e64 v6, -v12, v12, s[4:5]
	ds_bpermute_b32 v7, v19, v13
	v_cndmask_b32_e64 v9, -v9, v9, s[4:5]
	v_cndmask_b32_e64 v8, -v8, v8, s[4:5]
	s_waitcnt lgkmcnt(3)
	v_add_f32_e32 v11, v6, v11
	ds_bpermute_b32 v6, v19, v14
	s_waitcnt lgkmcnt(2)
	v_pk_add_f32 v[4:5], v[8:9], v[4:5]
	ds_bpermute_b32 v9, v19, v10
	v_cndmask_b32_e64 v8, -v13, v13, s[4:5]
	s_waitcnt lgkmcnt(2)
	v_add_f32_e32 v12, v8, v7
	v_cndmask_b32_e64 v7, -v14, v14, s[4:5]
	s_waitcnt lgkmcnt(1)
	v_add_f32_e32 v13, v7, v6
	;; [unrolled: 3-line block ×3, first 2 shown]
	ds_bpermute_b32 v6, v21, v2
	ds_bpermute_b32 v7, v21, v3
	;; [unrolled: 1-line block ×5, first 2 shown]
	v_cmp_eq_u32_e64 s[4:5], 0, v20
	s_nop 1
	v_cndmask_b32_e64 v3, -v3, v3, s[4:5]
	v_cndmask_b32_e64 v2, -v2, v2, s[4:5]
	s_waitcnt lgkmcnt(3)
	v_pk_add_f32 v[2:3], v[2:3], v[6:7]
	v_cndmask_b32_e64 v6, -v11, v11, s[4:5]
	ds_bpermute_b32 v7, v21, v12
	v_cndmask_b32_e64 v5, -v5, v5, s[4:5]
	v_cndmask_b32_e64 v4, -v4, v4, s[4:5]
	s_waitcnt lgkmcnt(3)
	v_add_f32_e32 v10, v6, v10
	ds_bpermute_b32 v6, v21, v13
	s_waitcnt lgkmcnt(2)
	v_pk_add_f32 v[4:5], v[4:5], v[8:9]
	ds_bpermute_b32 v9, v21, v14
	v_cndmask_b32_e64 v8, -v12, v12, s[4:5]
	s_waitcnt lgkmcnt(2)
	v_add_f32_e32 v11, v8, v7
	v_cndmask_b32_e64 v7, -v13, v13, s[4:5]
	s_waitcnt lgkmcnt(1)
	v_add_f32_e32 v12, v7, v6
	;; [unrolled: 3-line block ×3, first 2 shown]
	v_xor_b32_e32 v6, 4, v16
	v_cmp_lt_i32_e64 s[4:5], v6, v17
	s_nop 1
	v_cndmask_b32_e64 v6, v16, v6, s[4:5]
	v_lshlrev_b32_e32 v17, 2, v6
	ds_bpermute_b32 v8, v17, v2
	ds_bpermute_b32 v9, v17, v3
	;; [unrolled: 1-line block ×8, first 2 shown]
	s_and_saveexec_b64 s[4:5], vcc
	s_cbranch_execz .LBB29_4
; %bb.3:
	s_load_dwordx2 s[4:5], s[0:1], 0x18
	s_load_dwordx2 s[6:7], s[0:1], 0x30
	s_load_dword s8, s[0:1], 0x20
	v_and_b32_e32 v0, 4, v0
	v_cmp_eq_u32_e32 vcc, 0, v0
	s_waitcnt lgkmcnt(0)
	s_mul_i32 s0, s4, s3
	s_mul_hi_u32 s1, s4, s2
	s_mul_i32 s3, s5, s2
	s_add_i32 s0, s1, s0
	s_add_i32 s1, s0, s3
	s_mul_i32 s0, s4, s2
	v_cndmask_b32_e64 v0, -v13, v13, vcc
	v_cndmask_b32_e64 v12, -v12, v12, vcc
	;; [unrolled: 1-line block ×8, first 2 shown]
	s_lshl_b64 s[0:1], s[0:1], 1
	v_add_f32_e32 v0, v0, v17
	v_add_f32_e32 v12, v12, v16
	;; [unrolled: 1-line block ×4, first 2 shown]
	v_pk_add_f32 v[2:3], v[2:3], v[8:9]
	v_pk_add_f32 v[4:5], v[4:5], v[6:7]
	s_add_u32 s0, s6, s0
	v_mul_f32_e32 v0, s8, v0
	v_mul_f32_e32 v12, s8, v12
	;; [unrolled: 1-line block ×4, first 2 shown]
	v_pk_mul_f32 v[4:5], s[8:9], v[4:5] op_sel_hi:[0,1]
	v_pk_mul_f32 v[6:7], s[8:9], v[2:3] op_sel_hi:[0,1]
	s_addc_u32 s1, s7, s1
	v_cvt_pk_bf16_f32 v3, v4, v5
	v_cvt_pk_bf16_f32 v2, v6, v7
	;; [unrolled: 1-line block ×4, first 2 shown]
	global_store_dwordx4 v1, v[2:5], s[0:1]
.LBB29_4:
	s_endpgm
	.section	.rodata,"a",@progbits
	.p2align	6, 0x0
	.amdhsa_kernel _Z30fast_hadamard_transform_kernelI37fast_hadamard_transform_kernel_traitsILi8ELi6E14__hip_bfloat16EEv18HadamardParamsBase
		.amdhsa_group_segment_fixed_size 0
		.amdhsa_private_segment_fixed_size 0
		.amdhsa_kernarg_size 56
		.amdhsa_user_sgpr_count 2
		.amdhsa_user_sgpr_dispatch_ptr 0
		.amdhsa_user_sgpr_queue_ptr 0
		.amdhsa_user_sgpr_kernarg_segment_ptr 1
		.amdhsa_user_sgpr_dispatch_id 0
		.amdhsa_user_sgpr_kernarg_preload_length 0
		.amdhsa_user_sgpr_kernarg_preload_offset 0
		.amdhsa_user_sgpr_private_segment_size 0
		.amdhsa_uses_dynamic_stack 0
		.amdhsa_enable_private_segment 0
		.amdhsa_system_sgpr_workgroup_id_x 1
		.amdhsa_system_sgpr_workgroup_id_y 0
		.amdhsa_system_sgpr_workgroup_id_z 0
		.amdhsa_system_sgpr_workgroup_info 0
		.amdhsa_system_vgpr_workitem_id 0
		.amdhsa_next_free_vgpr 22
		.amdhsa_next_free_sgpr 12
		.amdhsa_accum_offset 24
		.amdhsa_reserve_vcc 1
		.amdhsa_float_round_mode_32 0
		.amdhsa_float_round_mode_16_64 0
		.amdhsa_float_denorm_mode_32 3
		.amdhsa_float_denorm_mode_16_64 3
		.amdhsa_dx10_clamp 1
		.amdhsa_ieee_mode 1
		.amdhsa_fp16_overflow 0
		.amdhsa_tg_split 0
		.amdhsa_exception_fp_ieee_invalid_op 0
		.amdhsa_exception_fp_denorm_src 0
		.amdhsa_exception_fp_ieee_div_zero 0
		.amdhsa_exception_fp_ieee_overflow 0
		.amdhsa_exception_fp_ieee_underflow 0
		.amdhsa_exception_fp_ieee_inexact 0
		.amdhsa_exception_int_div_zero 0
	.end_amdhsa_kernel
	.section	.text._Z30fast_hadamard_transform_kernelI37fast_hadamard_transform_kernel_traitsILi8ELi6E14__hip_bfloat16EEv18HadamardParamsBase,"axG",@progbits,_Z30fast_hadamard_transform_kernelI37fast_hadamard_transform_kernel_traitsILi8ELi6E14__hip_bfloat16EEv18HadamardParamsBase,comdat
.Lfunc_end29:
	.size	_Z30fast_hadamard_transform_kernelI37fast_hadamard_transform_kernel_traitsILi8ELi6E14__hip_bfloat16EEv18HadamardParamsBase, .Lfunc_end29-_Z30fast_hadamard_transform_kernelI37fast_hadamard_transform_kernel_traitsILi8ELi6E14__hip_bfloat16EEv18HadamardParamsBase
                                        ; -- End function
	.set _Z30fast_hadamard_transform_kernelI37fast_hadamard_transform_kernel_traitsILi8ELi6E14__hip_bfloat16EEv18HadamardParamsBase.num_vgpr, 22
	.set _Z30fast_hadamard_transform_kernelI37fast_hadamard_transform_kernel_traitsILi8ELi6E14__hip_bfloat16EEv18HadamardParamsBase.num_agpr, 0
	.set _Z30fast_hadamard_transform_kernelI37fast_hadamard_transform_kernel_traitsILi8ELi6E14__hip_bfloat16EEv18HadamardParamsBase.numbered_sgpr, 12
	.set _Z30fast_hadamard_transform_kernelI37fast_hadamard_transform_kernel_traitsILi8ELi6E14__hip_bfloat16EEv18HadamardParamsBase.num_named_barrier, 0
	.set _Z30fast_hadamard_transform_kernelI37fast_hadamard_transform_kernel_traitsILi8ELi6E14__hip_bfloat16EEv18HadamardParamsBase.private_seg_size, 0
	.set _Z30fast_hadamard_transform_kernelI37fast_hadamard_transform_kernel_traitsILi8ELi6E14__hip_bfloat16EEv18HadamardParamsBase.uses_vcc, 1
	.set _Z30fast_hadamard_transform_kernelI37fast_hadamard_transform_kernel_traitsILi8ELi6E14__hip_bfloat16EEv18HadamardParamsBase.uses_flat_scratch, 0
	.set _Z30fast_hadamard_transform_kernelI37fast_hadamard_transform_kernel_traitsILi8ELi6E14__hip_bfloat16EEv18HadamardParamsBase.has_dyn_sized_stack, 0
	.set _Z30fast_hadamard_transform_kernelI37fast_hadamard_transform_kernel_traitsILi8ELi6E14__hip_bfloat16EEv18HadamardParamsBase.has_recursion, 0
	.set _Z30fast_hadamard_transform_kernelI37fast_hadamard_transform_kernel_traitsILi8ELi6E14__hip_bfloat16EEv18HadamardParamsBase.has_indirect_call, 0
	.section	.AMDGPU.csdata,"",@progbits
; Kernel info:
; codeLenInByte = 1140
; TotalNumSgprs: 18
; NumVgprs: 22
; NumAgprs: 0
; TotalNumVgprs: 22
; ScratchSize: 0
; MemoryBound: 0
; FloatMode: 240
; IeeeMode: 1
; LDSByteSize: 0 bytes/workgroup (compile time only)
; SGPRBlocks: 2
; VGPRBlocks: 2
; NumSGPRsForWavesPerEU: 18
; NumVGPRsForWavesPerEU: 22
; AccumOffset: 24
; Occupancy: 8
; WaveLimiterHint : 0
; COMPUTE_PGM_RSRC2:SCRATCH_EN: 0
; COMPUTE_PGM_RSRC2:USER_SGPR: 2
; COMPUTE_PGM_RSRC2:TRAP_HANDLER: 0
; COMPUTE_PGM_RSRC2:TGID_X_EN: 1
; COMPUTE_PGM_RSRC2:TGID_Y_EN: 0
; COMPUTE_PGM_RSRC2:TGID_Z_EN: 0
; COMPUTE_PGM_RSRC2:TIDIG_COMP_CNT: 0
; COMPUTE_PGM_RSRC3_GFX90A:ACCUM_OFFSET: 5
; COMPUTE_PGM_RSRC3_GFX90A:TG_SPLIT: 0
	.section	.text._Z30fast_hadamard_transform_kernelI37fast_hadamard_transform_kernel_traitsILi16ELi7E14__hip_bfloat16EEv18HadamardParamsBase,"axG",@progbits,_Z30fast_hadamard_transform_kernelI37fast_hadamard_transform_kernel_traitsILi16ELi7E14__hip_bfloat16EEv18HadamardParamsBase,comdat
	.protected	_Z30fast_hadamard_transform_kernelI37fast_hadamard_transform_kernel_traitsILi16ELi7E14__hip_bfloat16EEv18HadamardParamsBase ; -- Begin function _Z30fast_hadamard_transform_kernelI37fast_hadamard_transform_kernel_traitsILi16ELi7E14__hip_bfloat16EEv18HadamardParamsBase
	.globl	_Z30fast_hadamard_transform_kernelI37fast_hadamard_transform_kernel_traitsILi16ELi7E14__hip_bfloat16EEv18HadamardParamsBase
	.p2align	8
	.type	_Z30fast_hadamard_transform_kernelI37fast_hadamard_transform_kernel_traitsILi16ELi7E14__hip_bfloat16EEv18HadamardParamsBase,@function
_Z30fast_hadamard_transform_kernelI37fast_hadamard_transform_kernel_traitsILi16ELi7E14__hip_bfloat16EEv18HadamardParamsBase: ; @_Z30fast_hadamard_transform_kernelI37fast_hadamard_transform_kernel_traitsILi16ELi7E14__hip_bfloat16EEv18HadamardParamsBase
; %bb.0:
	s_load_dword s4, s[0:1], 0x4
	v_lshlrev_b32_e32 v1, 3, v0
	v_mov_b32_e32 v2, 0
	s_ashr_i32 s3, s2, 31
	v_mov_b32_e32 v3, v2
	s_waitcnt lgkmcnt(0)
	v_cmp_gt_u32_e32 vcc, s4, v1
	v_lshlrev_b32_e32 v1, 4, v0
	v_mov_b32_e32 v4, v2
	v_mov_b32_e32 v5, v2
	;; [unrolled: 1-line block ×6, first 2 shown]
	s_and_saveexec_b64 s[4:5], vcc
	s_cbranch_execz .LBB30_2
; %bb.1:
	s_load_dwordx2 s[6:7], s[0:1], 0x10
	s_load_dwordx2 s[8:9], s[0:1], 0x28
	s_waitcnt lgkmcnt(0)
	s_mul_i32 s10, s6, s3
	s_mul_hi_u32 s11, s6, s2
	s_mul_i32 s7, s7, s2
	s_add_i32 s10, s11, s10
	s_mul_i32 s6, s6, s2
	s_add_i32 s7, s10, s7
	s_lshl_b64 s[6:7], s[6:7], 1
	s_add_u32 s6, s8, s6
	s_addc_u32 s7, s9, s7
	global_load_dwordx4 v[10:13], v1, s[6:7]
	s_waitcnt vmcnt(0)
	v_lshlrev_b32_e32 v8, 16, v10
	v_and_b32_e32 v9, 0xffff0000, v10
	v_lshlrev_b32_e32 v6, 16, v11
	v_and_b32_e32 v7, 0xffff0000, v11
	;; [unrolled: 2-line block ×4, first 2 shown]
.LBB30_2:
	s_or_b64 exec, exec, s[4:5]
	v_pk_add_f32 v[10:11], v[8:9], v[8:9] op_sel:[0,1]
	v_pk_add_f32 v[8:9], v[8:9], v[8:9] op_sel_hi:[0,1] neg_lo:[0,1] neg_hi:[0,1]
	v_mov_b32_e32 v11, v9
	v_pk_add_f32 v[8:9], v[6:7], v[6:7] op_sel:[0,1]
	v_pk_add_f32 v[6:7], v[6:7], v[6:7] op_sel_hi:[0,1] neg_lo:[0,1] neg_hi:[0,1]
	v_mov_b32_e32 v9, v7
	v_pk_add_f32 v[6:7], v[4:5], v[4:5] op_sel:[0,1]
	v_pk_add_f32 v[4:5], v[4:5], v[4:5] op_sel_hi:[0,1] neg_lo:[0,1] neg_hi:[0,1]
	v_mov_b32_e32 v7, v5
	v_pk_add_f32 v[4:5], v[2:3], v[2:3] op_sel:[0,1]
	v_pk_add_f32 v[2:3], v[2:3], v[2:3] op_sel_hi:[0,1] neg_lo:[0,1] neg_hi:[0,1]
	v_mbcnt_lo_u32_b32 v2, -1, 0
	v_mbcnt_hi_u32_b32 v18, -1, v2
	v_and_b32_e32 v2, 64, v18
	v_add_u32_e32 v19, 64, v2
	v_xor_b32_e32 v2, 1, v18
	v_cmp_lt_i32_e64 s[4:5], v2, v19
	v_mov_b32_e32 v5, v3
	v_and_b32_e32 v14, 1, v0
	v_cndmask_b32_e64 v2, v18, v2, s[4:5]
	v_lshlrev_b32_e32 v20, 2, v2
	v_xor_b32_e32 v2, 2, v18
	v_cmp_lt_i32_e64 s[4:5], v2, v19
	v_and_b32_e32 v21, 2, v0
	v_cmp_eq_u32_e64 s[6:7], 0, v21
	v_cndmask_b32_e64 v2, v18, v2, s[4:5]
	v_lshlrev_b32_e32 v22, 2, v2
	v_xor_b32_e32 v2, 4, v18
	v_cmp_lt_i32_e64 s[4:5], v2, v19
	v_and_b32_e32 v23, 4, v0
	s_nop 0
	v_cndmask_b32_e64 v2, v18, v2, s[4:5]
	v_lshlrev_b32_e32 v24, 2, v2
	v_pk_add_f32 v[2:3], v[8:9], v[10:11]
	v_pk_add_f32 v[8:9], v[10:11], v[8:9] neg_lo:[0,1] neg_hi:[0,1]
	v_pk_add_f32 v[10:11], v[4:5], v[6:7]
	v_pk_add_f32 v[4:5], v[6:7], v[4:5] neg_lo:[0,1] neg_hi:[0,1]
	v_sub_f32_e32 v15, v3, v11
	v_sub_f32_e32 v17, v2, v10
	ds_bpermute_b32 v6, v20, v17
	ds_bpermute_b32 v7, v20, v15
	v_cmp_eq_u32_e64 s[4:5], 0, v14
	v_sub_f32_e32 v16, v9, v5
	v_sub_f32_e32 v25, v8, v4
	v_cndmask_b32_e64 v15, -v15, v15, s[4:5]
	v_cndmask_b32_e64 v14, -v17, v17, s[4:5]
	s_waitcnt lgkmcnt(0)
	v_pk_add_f32 v[6:7], v[14:15], v[6:7]
	ds_bpermute_b32 v14, v22, v6
	ds_bpermute_b32 v15, v22, v7
	v_pk_add_f32 v[4:5], v[4:5], v[8:9]
	ds_bpermute_b32 v8, v20, v4
	ds_bpermute_b32 v9, v20, v5
	v_cndmask_b32_e64 v7, -v7, v7, s[6:7]
	v_cndmask_b32_e64 v6, -v6, v6, s[6:7]
	v_pk_add_f32 v[2:3], v[10:11], v[2:3]
	s_waitcnt lgkmcnt(2)
	v_pk_add_f32 v[14:15], v[6:7], v[14:15]
	ds_bpermute_b32 v6, v20, v2
	ds_bpermute_b32 v7, v20, v3
	v_cndmask_b32_e64 v5, -v5, v5, s[4:5]
	v_cndmask_b32_e64 v4, -v4, v4, s[4:5]
	s_waitcnt lgkmcnt(2)
	v_pk_add_f32 v[4:5], v[4:5], v[8:9]
	ds_bpermute_b32 v8, v22, v4
	ds_bpermute_b32 v9, v22, v5
	;; [unrolled: 1-line block ×4, first 2 shown]
	v_cndmask_b32_e64 v3, -v3, v3, s[4:5]
	v_cndmask_b32_e64 v2, -v2, v2, s[4:5]
	s_waitcnt lgkmcnt(4)
	v_pk_add_f32 v[2:3], v[2:3], v[6:7]
	ds_bpermute_b32 v6, v22, v2
	ds_bpermute_b32 v7, v22, v3
	v_cndmask_b32_e64 v5, -v5, v5, s[6:7]
	v_cndmask_b32_e64 v4, -v4, v4, s[6:7]
	s_waitcnt lgkmcnt(4)
	v_pk_add_f32 v[4:5], v[4:5], v[8:9]
	v_cndmask_b32_e64 v17, -v16, v16, s[4:5]
	v_cndmask_b32_e64 v16, -v25, v25, s[4:5]
	ds_bpermute_b32 v8, v24, v4
	ds_bpermute_b32 v9, v24, v5
	s_waitcnt lgkmcnt(4)
	v_pk_add_f32 v[12:13], v[16:17], v[12:13]
	ds_bpermute_b32 v16, v22, v12
	ds_bpermute_b32 v17, v22, v13
	v_cndmask_b32_e64 v3, -v3, v3, s[6:7]
	v_cndmask_b32_e64 v2, -v2, v2, s[6:7]
	s_waitcnt lgkmcnt(4)
	v_pk_add_f32 v[2:3], v[2:3], v[6:7]
	v_cmp_eq_u32_e64 s[4:5], 0, v23
	ds_bpermute_b32 v6, v24, v2
	ds_bpermute_b32 v7, v24, v3
	v_cndmask_b32_e64 v11, -v3, v3, s[4:5]
	v_cndmask_b32_e64 v10, -v2, v2, s[4:5]
	;; [unrolled: 1-line block ×4, first 2 shown]
	s_waitcnt lgkmcnt(4)
	v_pk_add_f32 v[2:3], v[2:3], v[8:9]
	ds_bpermute_b32 v8, v24, v14
	ds_bpermute_b32 v9, v24, v15
	v_cndmask_b32_e64 v13, -v13, v13, s[6:7]
	v_cndmask_b32_e64 v12, -v12, v12, s[6:7]
	s_waitcnt lgkmcnt(4)
	v_pk_add_f32 v[12:13], v[12:13], v[16:17]
	ds_bpermute_b32 v4, v24, v12
	ds_bpermute_b32 v5, v24, v13
	s_waitcnt lgkmcnt(4)
	v_pk_add_f32 v[6:7], v[10:11], v[6:7]
	v_cndmask_b32_e64 v11, -v15, v15, s[4:5]
	v_cndmask_b32_e64 v10, -v14, v14, s[4:5]
	s_waitcnt lgkmcnt(2)
	v_pk_add_f32 v[8:9], v[10:11], v[8:9]
	v_xor_b32_e32 v10, 8, v18
	v_cndmask_b32_e64 v13, -v13, v13, s[4:5]
	v_cndmask_b32_e64 v12, -v12, v12, s[4:5]
	v_cmp_lt_i32_e64 s[4:5], v10, v19
	s_waitcnt lgkmcnt(0)
	v_pk_add_f32 v[4:5], v[12:13], v[4:5]
	v_cndmask_b32_e64 v10, v18, v10, s[4:5]
	v_lshlrev_b32_e32 v11, 2, v10
	ds_bpermute_b32 v16, v11, v6
	ds_bpermute_b32 v17, v11, v7
	;; [unrolled: 1-line block ×8, first 2 shown]
	s_and_saveexec_b64 s[4:5], vcc
	s_cbranch_execz .LBB30_4
; %bb.3:
	s_load_dwordx2 s[4:5], s[0:1], 0x18
	s_load_dwordx2 s[6:7], s[0:1], 0x30
	s_load_dword s8, s[0:1], 0x20
	v_and_b32_e32 v0, 8, v0
	v_cmp_eq_u32_e32 vcc, 0, v0
	s_waitcnt lgkmcnt(0)
	s_mul_i32 s0, s4, s3
	s_mul_hi_u32 s1, s4, s2
	s_mul_i32 s3, s5, s2
	s_add_i32 s0, s1, s0
	s_add_i32 s1, s0, s3
	s_mul_i32 s0, s4, s2
	v_cndmask_b32_e64 v3, -v3, v3, vcc
	v_cndmask_b32_e64 v2, -v2, v2, vcc
	;; [unrolled: 1-line block ×8, first 2 shown]
	s_lshl_b64 s[0:1], s[0:1], 1
	v_pk_add_f32 v[6:7], v[6:7], v[16:17]
	v_pk_add_f32 v[2:3], v[2:3], v[14:15]
	;; [unrolled: 1-line block ×4, first 2 shown]
	s_add_u32 s0, s6, s0
	v_pk_mul_f32 v[2:3], s[8:9], v[2:3] op_sel_hi:[0,1]
	v_pk_mul_f32 v[6:7], s[8:9], v[6:7] op_sel_hi:[0,1]
	;; [unrolled: 1-line block ×4, first 2 shown]
	s_addc_u32 s1, s7, s1
	v_cvt_pk_bf16_f32 v5, v4, v5
	v_cvt_pk_bf16_f32 v4, v8, v9
	;; [unrolled: 1-line block ×4, first 2 shown]
	global_store_dwordx4 v1, v[2:5], s[0:1]
.LBB30_4:
	s_endpgm
	.section	.rodata,"a",@progbits
	.p2align	6, 0x0
	.amdhsa_kernel _Z30fast_hadamard_transform_kernelI37fast_hadamard_transform_kernel_traitsILi16ELi7E14__hip_bfloat16EEv18HadamardParamsBase
		.amdhsa_group_segment_fixed_size 0
		.amdhsa_private_segment_fixed_size 0
		.amdhsa_kernarg_size 56
		.amdhsa_user_sgpr_count 2
		.amdhsa_user_sgpr_dispatch_ptr 0
		.amdhsa_user_sgpr_queue_ptr 0
		.amdhsa_user_sgpr_kernarg_segment_ptr 1
		.amdhsa_user_sgpr_dispatch_id 0
		.amdhsa_user_sgpr_kernarg_preload_length 0
		.amdhsa_user_sgpr_kernarg_preload_offset 0
		.amdhsa_user_sgpr_private_segment_size 0
		.amdhsa_uses_dynamic_stack 0
		.amdhsa_enable_private_segment 0
		.amdhsa_system_sgpr_workgroup_id_x 1
		.amdhsa_system_sgpr_workgroup_id_y 0
		.amdhsa_system_sgpr_workgroup_id_z 0
		.amdhsa_system_sgpr_workgroup_info 0
		.amdhsa_system_vgpr_workitem_id 0
		.amdhsa_next_free_vgpr 26
		.amdhsa_next_free_sgpr 12
		.amdhsa_accum_offset 28
		.amdhsa_reserve_vcc 1
		.amdhsa_float_round_mode_32 0
		.amdhsa_float_round_mode_16_64 0
		.amdhsa_float_denorm_mode_32 3
		.amdhsa_float_denorm_mode_16_64 3
		.amdhsa_dx10_clamp 1
		.amdhsa_ieee_mode 1
		.amdhsa_fp16_overflow 0
		.amdhsa_tg_split 0
		.amdhsa_exception_fp_ieee_invalid_op 0
		.amdhsa_exception_fp_denorm_src 0
		.amdhsa_exception_fp_ieee_div_zero 0
		.amdhsa_exception_fp_ieee_overflow 0
		.amdhsa_exception_fp_ieee_underflow 0
		.amdhsa_exception_fp_ieee_inexact 0
		.amdhsa_exception_int_div_zero 0
	.end_amdhsa_kernel
	.section	.text._Z30fast_hadamard_transform_kernelI37fast_hadamard_transform_kernel_traitsILi16ELi7E14__hip_bfloat16EEv18HadamardParamsBase,"axG",@progbits,_Z30fast_hadamard_transform_kernelI37fast_hadamard_transform_kernel_traitsILi16ELi7E14__hip_bfloat16EEv18HadamardParamsBase,comdat
.Lfunc_end30:
	.size	_Z30fast_hadamard_transform_kernelI37fast_hadamard_transform_kernel_traitsILi16ELi7E14__hip_bfloat16EEv18HadamardParamsBase, .Lfunc_end30-_Z30fast_hadamard_transform_kernelI37fast_hadamard_transform_kernel_traitsILi16ELi7E14__hip_bfloat16EEv18HadamardParamsBase
                                        ; -- End function
	.set _Z30fast_hadamard_transform_kernelI37fast_hadamard_transform_kernel_traitsILi16ELi7E14__hip_bfloat16EEv18HadamardParamsBase.num_vgpr, 26
	.set _Z30fast_hadamard_transform_kernelI37fast_hadamard_transform_kernel_traitsILi16ELi7E14__hip_bfloat16EEv18HadamardParamsBase.num_agpr, 0
	.set _Z30fast_hadamard_transform_kernelI37fast_hadamard_transform_kernel_traitsILi16ELi7E14__hip_bfloat16EEv18HadamardParamsBase.numbered_sgpr, 12
	.set _Z30fast_hadamard_transform_kernelI37fast_hadamard_transform_kernel_traitsILi16ELi7E14__hip_bfloat16EEv18HadamardParamsBase.num_named_barrier, 0
	.set _Z30fast_hadamard_transform_kernelI37fast_hadamard_transform_kernel_traitsILi16ELi7E14__hip_bfloat16EEv18HadamardParamsBase.private_seg_size, 0
	.set _Z30fast_hadamard_transform_kernelI37fast_hadamard_transform_kernel_traitsILi16ELi7E14__hip_bfloat16EEv18HadamardParamsBase.uses_vcc, 1
	.set _Z30fast_hadamard_transform_kernelI37fast_hadamard_transform_kernel_traitsILi16ELi7E14__hip_bfloat16EEv18HadamardParamsBase.uses_flat_scratch, 0
	.set _Z30fast_hadamard_transform_kernelI37fast_hadamard_transform_kernel_traitsILi16ELi7E14__hip_bfloat16EEv18HadamardParamsBase.has_dyn_sized_stack, 0
	.set _Z30fast_hadamard_transform_kernelI37fast_hadamard_transform_kernel_traitsILi16ELi7E14__hip_bfloat16EEv18HadamardParamsBase.has_recursion, 0
	.set _Z30fast_hadamard_transform_kernelI37fast_hadamard_transform_kernel_traitsILi16ELi7E14__hip_bfloat16EEv18HadamardParamsBase.has_indirect_call, 0
	.section	.AMDGPU.csdata,"",@progbits
; Kernel info:
; codeLenInByte = 1336
; TotalNumSgprs: 18
; NumVgprs: 26
; NumAgprs: 0
; TotalNumVgprs: 26
; ScratchSize: 0
; MemoryBound: 0
; FloatMode: 240
; IeeeMode: 1
; LDSByteSize: 0 bytes/workgroup (compile time only)
; SGPRBlocks: 2
; VGPRBlocks: 3
; NumSGPRsForWavesPerEU: 18
; NumVGPRsForWavesPerEU: 26
; AccumOffset: 28
; Occupancy: 8
; WaveLimiterHint : 0
; COMPUTE_PGM_RSRC2:SCRATCH_EN: 0
; COMPUTE_PGM_RSRC2:USER_SGPR: 2
; COMPUTE_PGM_RSRC2:TRAP_HANDLER: 0
; COMPUTE_PGM_RSRC2:TGID_X_EN: 1
; COMPUTE_PGM_RSRC2:TGID_Y_EN: 0
; COMPUTE_PGM_RSRC2:TGID_Z_EN: 0
; COMPUTE_PGM_RSRC2:TIDIG_COMP_CNT: 0
; COMPUTE_PGM_RSRC3_GFX90A:ACCUM_OFFSET: 6
; COMPUTE_PGM_RSRC3_GFX90A:TG_SPLIT: 0
	.section	.text._Z30fast_hadamard_transform_kernelI37fast_hadamard_transform_kernel_traitsILi32ELi8E14__hip_bfloat16EEv18HadamardParamsBase,"axG",@progbits,_Z30fast_hadamard_transform_kernelI37fast_hadamard_transform_kernel_traitsILi32ELi8E14__hip_bfloat16EEv18HadamardParamsBase,comdat
	.protected	_Z30fast_hadamard_transform_kernelI37fast_hadamard_transform_kernel_traitsILi32ELi8E14__hip_bfloat16EEv18HadamardParamsBase ; -- Begin function _Z30fast_hadamard_transform_kernelI37fast_hadamard_transform_kernel_traitsILi32ELi8E14__hip_bfloat16EEv18HadamardParamsBase
	.globl	_Z30fast_hadamard_transform_kernelI37fast_hadamard_transform_kernel_traitsILi32ELi8E14__hip_bfloat16EEv18HadamardParamsBase
	.p2align	8
	.type	_Z30fast_hadamard_transform_kernelI37fast_hadamard_transform_kernel_traitsILi32ELi8E14__hip_bfloat16EEv18HadamardParamsBase,@function
_Z30fast_hadamard_transform_kernelI37fast_hadamard_transform_kernel_traitsILi32ELi8E14__hip_bfloat16EEv18HadamardParamsBase: ; @_Z30fast_hadamard_transform_kernelI37fast_hadamard_transform_kernel_traitsILi32ELi8E14__hip_bfloat16EEv18HadamardParamsBase
; %bb.0:
	s_load_dword s4, s[0:1], 0x4
	v_lshlrev_b32_e32 v1, 3, v0
	v_mov_b32_e32 v3, 0
	s_ashr_i32 s3, s2, 31
	v_mov_b32_e32 v7, 0
	s_waitcnt lgkmcnt(0)
	v_cmp_gt_u32_e32 vcc, s4, v1
	v_lshlrev_b32_e32 v1, 4, v0
	v_mov_b32_e32 v5, 0
	v_mov_b32_e32 v9, 0
	;; [unrolled: 1-line block ×6, first 2 shown]
	s_and_saveexec_b64 s[4:5], vcc
	s_cbranch_execz .LBB31_2
; %bb.1:
	s_load_dwordx2 s[6:7], s[0:1], 0x10
	s_load_dwordx2 s[8:9], s[0:1], 0x28
	s_waitcnt lgkmcnt(0)
	s_mul_i32 s10, s6, s3
	s_mul_hi_u32 s11, s6, s2
	s_mul_i32 s7, s7, s2
	s_add_i32 s10, s11, s10
	s_mul_i32 s6, s6, s2
	s_add_i32 s7, s10, s7
	s_lshl_b64 s[6:7], s[6:7], 1
	s_add_u32 s6, s8, s6
	s_addc_u32 s7, s9, s7
	global_load_dwordx4 v[8:11], v1, s[6:7]
	s_waitcnt vmcnt(0)
	v_lshlrev_b32_e32 v4, 16, v8
	v_and_b32_e32 v8, 0xffff0000, v8
	v_lshlrev_b32_e32 v2, 16, v9
	v_and_b32_e32 v6, 0xffff0000, v9
	;; [unrolled: 2-line block ×4, first 2 shown]
.LBB31_2:
	s_or_b64 exec, exec, s[4:5]
	v_pk_add_f32 v[10:11], v[8:9], v[4:5]
	v_pk_add_f32 v[12:13], v[6:7], v[2:3]
	v_pk_add_f32 v[4:5], v[4:5], v[8:9] neg_lo:[0,1] neg_hi:[0,1]
	v_pk_add_f32 v[2:3], v[2:3], v[6:7] neg_lo:[0,1] neg_hi:[0,1]
	v_pk_add_f32 v[14:15], v[12:13], v[10:11]
	v_pk_add_f32 v[6:7], v[2:3], v[4:5]
	v_pk_add_f32 v[2:3], v[4:5], v[2:3] neg_lo:[0,1] neg_hi:[0,1]
	v_pk_add_f32 v[10:11], v[10:11], v[12:13] neg_lo:[0,1] neg_hi:[0,1]
	v_add_f32_e32 v18, v3, v2
	v_sub_f32_e32 v19, v2, v3
	v_mbcnt_lo_u32_b32 v2, -1, 0
	v_mbcnt_hi_u32_b32 v20, -1, v2
	v_and_b32_e32 v2, 64, v20
	v_add_u32_e32 v21, 64, v2
	v_xor_b32_e32 v2, 1, v20
	v_cmp_lt_i32_e64 s[4:5], v2, v21
	v_add_f32_e32 v12, v15, v14
	v_add_f32_e32 v13, v7, v6
	v_cndmask_b32_e64 v2, v20, v2, s[4:5]
	v_lshlrev_b32_e32 v9, 2, v2
	v_add_f32_e32 v16, v11, v10
	v_sub_f32_e32 v17, v10, v11
	v_and_b32_e32 v10, 1, v0
	ds_bpermute_b32 v2, v9, v12
	ds_bpermute_b32 v3, v9, v13
	v_cmp_eq_u32_e64 s[4:5], 0, v10
	v_sub_f32_e32 v14, v14, v15
	v_sub_f32_e32 v15, v6, v7
	ds_bpermute_b32 v5, v9, v18
	v_cndmask_b32_e64 v11, -v13, v13, s[4:5]
	v_cndmask_b32_e64 v13, -v18, v18, s[4:5]
	v_xor_b32_e32 v18, 2, v20
	ds_bpermute_b32 v4, v9, v16
	ds_bpermute_b32 v6, v9, v14
	;; [unrolled: 1-line block ×4, first 2 shown]
	v_cndmask_b32_e64 v10, -v12, v12, s[4:5]
	v_cndmask_b32_e64 v12, -v16, v16, s[4:5]
	v_cndmask_b32_e64 v14, -v14, v14, s[4:5]
	v_cndmask_b32_e64 v15, -v15, v15, s[4:5]
	v_cndmask_b32_e64 v16, -v17, v17, s[4:5]
	v_cndmask_b32_e64 v17, -v19, v19, s[4:5]
	v_cmp_lt_i32_e64 s[4:5], v18, v21
	s_waitcnt lgkmcnt(5)
	v_pk_add_f32 v[2:3], v[10:11], v[2:3]
	ds_bpermute_b32 v9, v9, v19
	v_cndmask_b32_e64 v18, v20, v18, s[4:5]
	v_lshlrev_b32_e32 v23, 2, v18
	v_xor_b32_e32 v19, 4, v20
	ds_bpermute_b32 v10, v23, v2
	ds_bpermute_b32 v11, v23, v3
	v_cmp_lt_i32_e64 s[4:5], v19, v21
	v_xor_b32_e32 v25, 8, v20
	v_and_b32_e32 v22, 2, v0
	v_cndmask_b32_e64 v19, v20, v19, s[4:5]
	v_cmp_lt_i32_e64 s[4:5], v25, v21
	s_waitcnt lgkmcnt(6)
	v_pk_add_f32 v[4:5], v[12:13], v[4:5]
	ds_bpermute_b32 v12, v23, v4
	v_cndmask_b32_e64 v25, v20, v25, s[4:5]
	ds_bpermute_b32 v13, v23, v5
	v_cmp_eq_u32_e64 s[4:5], 0, v22
	v_lshlrev_b32_e32 v24, 2, v19
	v_and_b32_e32 v18, 4, v0
	v_cndmask_b32_e64 v3, -v3, v3, s[4:5]
	v_cndmask_b32_e64 v2, -v2, v2, s[4:5]
	s_waitcnt lgkmcnt(2)
	v_pk_add_f32 v[2:3], v[2:3], v[10:11]
	ds_bpermute_b32 v10, v24, v2
	ds_bpermute_b32 v11, v24, v3
	v_cndmask_b32_e64 v5, -v5, v5, s[4:5]
	v_cndmask_b32_e64 v4, -v4, v4, s[4:5]
	s_waitcnt lgkmcnt(2)
	v_pk_add_f32 v[4:5], v[4:5], v[12:13]
	ds_bpermute_b32 v12, v24, v4
	ds_bpermute_b32 v13, v24, v5
	v_cmp_eq_u32_e64 s[6:7], 0, v18
	v_lshlrev_b32_e32 v25, 2, v25
	v_and_b32_e32 v19, 8, v0
	v_cndmask_b32_e64 v3, -v3, v3, s[6:7]
	v_cndmask_b32_e64 v2, -v2, v2, s[6:7]
	s_waitcnt lgkmcnt(2)
	v_pk_add_f32 v[2:3], v[2:3], v[10:11]
	ds_bpermute_b32 v10, v25, v2
	ds_bpermute_b32 v11, v25, v3
	v_cndmask_b32_e64 v5, -v5, v5, s[6:7]
	v_cndmask_b32_e64 v4, -v4, v4, s[6:7]
	s_waitcnt lgkmcnt(2)
	v_pk_add_f32 v[4:5], v[4:5], v[12:13]
	ds_bpermute_b32 v12, v25, v4
	ds_bpermute_b32 v13, v25, v5
	v_cmp_eq_u32_e64 s[8:9], 0, v19
	v_pk_add_f32 v[6:7], v[14:15], v[6:7]
	v_pk_add_f32 v[8:9], v[16:17], v[8:9]
	v_cndmask_b32_e64 v19, -v3, v3, s[8:9]
	v_cndmask_b32_e64 v18, -v2, v2, s[8:9]
	;; [unrolled: 1-line block ×4, first 2 shown]
	s_waitcnt lgkmcnt(2)
	v_pk_add_f32 v[4:5], v[18:19], v[10:11]
	ds_bpermute_b32 v10, v23, v6
	ds_bpermute_b32 v11, v23, v7
	s_waitcnt lgkmcnt(2)
	v_pk_add_f32 v[2:3], v[2:3], v[12:13]
	ds_bpermute_b32 v12, v23, v8
	ds_bpermute_b32 v13, v23, v9
	v_cndmask_b32_e64 v7, -v7, v7, s[4:5]
	v_cndmask_b32_e64 v6, -v6, v6, s[4:5]
	s_waitcnt lgkmcnt(2)
	v_pk_add_f32 v[6:7], v[6:7], v[10:11]
	ds_bpermute_b32 v10, v24, v6
	ds_bpermute_b32 v11, v24, v7
	v_cndmask_b32_e64 v9, -v9, v9, s[4:5]
	v_cndmask_b32_e64 v8, -v8, v8, s[4:5]
	s_waitcnt lgkmcnt(2)
	v_pk_add_f32 v[8:9], v[8:9], v[12:13]
	ds_bpermute_b32 v12, v24, v8
	ds_bpermute_b32 v13, v24, v9
	v_cndmask_b32_e64 v7, -v7, v7, s[6:7]
	v_cndmask_b32_e64 v6, -v6, v6, s[6:7]
	s_waitcnt lgkmcnt(2)
	v_pk_add_f32 v[6:7], v[6:7], v[10:11]
	ds_bpermute_b32 v10, v25, v6
	ds_bpermute_b32 v11, v25, v7
	v_cndmask_b32_e64 v9, -v9, v9, s[6:7]
	v_cndmask_b32_e64 v8, -v8, v8, s[6:7]
	s_waitcnt lgkmcnt(2)
	v_pk_add_f32 v[8:9], v[8:9], v[12:13]
	ds_bpermute_b32 v12, v25, v8
	ds_bpermute_b32 v13, v25, v9
	v_cndmask_b32_e64 v15, -v7, v7, s[8:9]
	v_cndmask_b32_e64 v14, -v6, v6, s[8:9]
	v_cndmask_b32_e64 v7, -v9, v9, s[8:9]
	v_cndmask_b32_e64 v6, -v8, v8, s[8:9]
	s_waitcnt lgkmcnt(2)
	v_pk_add_f32 v[8:9], v[14:15], v[10:11]
	v_xor_b32_e32 v10, 16, v20
	v_cmp_lt_i32_e64 s[4:5], v10, v21
	s_waitcnt lgkmcnt(0)
	v_pk_add_f32 v[6:7], v[6:7], v[12:13]
	v_cndmask_b32_e64 v10, v20, v10, s[4:5]
	v_lshlrev_b32_e32 v11, 2, v10
	ds_bpermute_b32 v16, v11, v4
	ds_bpermute_b32 v17, v11, v5
	ds_bpermute_b32 v14, v11, v2
	ds_bpermute_b32 v15, v11, v3
	ds_bpermute_b32 v12, v11, v8
	ds_bpermute_b32 v13, v11, v9
	ds_bpermute_b32 v10, v11, v6
	ds_bpermute_b32 v11, v11, v7
	s_and_saveexec_b64 s[4:5], vcc
	s_cbranch_execz .LBB31_4
; %bb.3:
	s_load_dwordx2 s[4:5], s[0:1], 0x18
	s_load_dwordx2 s[6:7], s[0:1], 0x30
	s_load_dword s8, s[0:1], 0x20
	v_and_b32_e32 v0, 16, v0
	v_cmp_eq_u32_e32 vcc, 0, v0
	s_waitcnt lgkmcnt(0)
	s_mul_i32 s0, s4, s3
	s_mul_hi_u32 s1, s4, s2
	v_cndmask_b32_e64 v5, -v5, v5, vcc
	v_cndmask_b32_e64 v4, -v4, v4, vcc
	s_mul_i32 s3, s5, s2
	s_add_i32 s0, s1, s0
	v_cndmask_b32_e64 v3, -v3, v3, vcc
	v_cndmask_b32_e64 v2, -v2, v2, vcc
	v_pk_add_f32 v[4:5], v[4:5], v[16:17]
	s_add_i32 s1, s0, s3
	s_mul_i32 s0, s4, s2
	v_pk_add_f32 v[2:3], v[2:3], v[14:15]
	v_pk_mul_f32 v[14:15], s[8:9], v[4:5] op_sel_hi:[0,1]
	v_cndmask_b32_e64 v5, -v7, v7, vcc
	v_cndmask_b32_e64 v4, -v6, v6, vcc
	;; [unrolled: 1-line block ×4, first 2 shown]
	s_lshl_b64 s[0:1], s[0:1], 1
	v_pk_add_f32 v[6:7], v[6:7], v[12:13]
	v_pk_add_f32 v[4:5], v[4:5], v[10:11]
	s_add_u32 s0, s6, s0
	v_pk_mul_f32 v[2:3], s[8:9], v[2:3] op_sel_hi:[0,1]
	v_pk_mul_f32 v[4:5], s[8:9], v[4:5] op_sel_hi:[0,1]
	;; [unrolled: 1-line block ×3, first 2 shown]
	s_addc_u32 s1, s7, s1
	v_cvt_pk_bf16_f32 v5, v4, v5
	v_cvt_pk_bf16_f32 v4, v6, v7
	;; [unrolled: 1-line block ×4, first 2 shown]
	global_store_dwordx4 v1, v[2:5], s[0:1]
.LBB31_4:
	s_endpgm
	.section	.rodata,"a",@progbits
	.p2align	6, 0x0
	.amdhsa_kernel _Z30fast_hadamard_transform_kernelI37fast_hadamard_transform_kernel_traitsILi32ELi8E14__hip_bfloat16EEv18HadamardParamsBase
		.amdhsa_group_segment_fixed_size 0
		.amdhsa_private_segment_fixed_size 0
		.amdhsa_kernarg_size 56
		.amdhsa_user_sgpr_count 2
		.amdhsa_user_sgpr_dispatch_ptr 0
		.amdhsa_user_sgpr_queue_ptr 0
		.amdhsa_user_sgpr_kernarg_segment_ptr 1
		.amdhsa_user_sgpr_dispatch_id 0
		.amdhsa_user_sgpr_kernarg_preload_length 0
		.amdhsa_user_sgpr_kernarg_preload_offset 0
		.amdhsa_user_sgpr_private_segment_size 0
		.amdhsa_uses_dynamic_stack 0
		.amdhsa_enable_private_segment 0
		.amdhsa_system_sgpr_workgroup_id_x 1
		.amdhsa_system_sgpr_workgroup_id_y 0
		.amdhsa_system_sgpr_workgroup_id_z 0
		.amdhsa_system_sgpr_workgroup_info 0
		.amdhsa_system_vgpr_workitem_id 0
		.amdhsa_next_free_vgpr 26
		.amdhsa_next_free_sgpr 12
		.amdhsa_accum_offset 28
		.amdhsa_reserve_vcc 1
		.amdhsa_float_round_mode_32 0
		.amdhsa_float_round_mode_16_64 0
		.amdhsa_float_denorm_mode_32 3
		.amdhsa_float_denorm_mode_16_64 3
		.amdhsa_dx10_clamp 1
		.amdhsa_ieee_mode 1
		.amdhsa_fp16_overflow 0
		.amdhsa_tg_split 0
		.amdhsa_exception_fp_ieee_invalid_op 0
		.amdhsa_exception_fp_denorm_src 0
		.amdhsa_exception_fp_ieee_div_zero 0
		.amdhsa_exception_fp_ieee_overflow 0
		.amdhsa_exception_fp_ieee_underflow 0
		.amdhsa_exception_fp_ieee_inexact 0
		.amdhsa_exception_int_div_zero 0
	.end_amdhsa_kernel
	.section	.text._Z30fast_hadamard_transform_kernelI37fast_hadamard_transform_kernel_traitsILi32ELi8E14__hip_bfloat16EEv18HadamardParamsBase,"axG",@progbits,_Z30fast_hadamard_transform_kernelI37fast_hadamard_transform_kernel_traitsILi32ELi8E14__hip_bfloat16EEv18HadamardParamsBase,comdat
.Lfunc_end31:
	.size	_Z30fast_hadamard_transform_kernelI37fast_hadamard_transform_kernel_traitsILi32ELi8E14__hip_bfloat16EEv18HadamardParamsBase, .Lfunc_end31-_Z30fast_hadamard_transform_kernelI37fast_hadamard_transform_kernel_traitsILi32ELi8E14__hip_bfloat16EEv18HadamardParamsBase
                                        ; -- End function
	.set _Z30fast_hadamard_transform_kernelI37fast_hadamard_transform_kernel_traitsILi32ELi8E14__hip_bfloat16EEv18HadamardParamsBase.num_vgpr, 26
	.set _Z30fast_hadamard_transform_kernelI37fast_hadamard_transform_kernel_traitsILi32ELi8E14__hip_bfloat16EEv18HadamardParamsBase.num_agpr, 0
	.set _Z30fast_hadamard_transform_kernelI37fast_hadamard_transform_kernel_traitsILi32ELi8E14__hip_bfloat16EEv18HadamardParamsBase.numbered_sgpr, 12
	.set _Z30fast_hadamard_transform_kernelI37fast_hadamard_transform_kernel_traitsILi32ELi8E14__hip_bfloat16EEv18HadamardParamsBase.num_named_barrier, 0
	.set _Z30fast_hadamard_transform_kernelI37fast_hadamard_transform_kernel_traitsILi32ELi8E14__hip_bfloat16EEv18HadamardParamsBase.private_seg_size, 0
	.set _Z30fast_hadamard_transform_kernelI37fast_hadamard_transform_kernel_traitsILi32ELi8E14__hip_bfloat16EEv18HadamardParamsBase.uses_vcc, 1
	.set _Z30fast_hadamard_transform_kernelI37fast_hadamard_transform_kernel_traitsILi32ELi8E14__hip_bfloat16EEv18HadamardParamsBase.uses_flat_scratch, 0
	.set _Z30fast_hadamard_transform_kernelI37fast_hadamard_transform_kernel_traitsILi32ELi8E14__hip_bfloat16EEv18HadamardParamsBase.has_dyn_sized_stack, 0
	.set _Z30fast_hadamard_transform_kernelI37fast_hadamard_transform_kernel_traitsILi32ELi8E14__hip_bfloat16EEv18HadamardParamsBase.has_recursion, 0
	.set _Z30fast_hadamard_transform_kernelI37fast_hadamard_transform_kernel_traitsILi32ELi8E14__hip_bfloat16EEv18HadamardParamsBase.has_indirect_call, 0
	.section	.AMDGPU.csdata,"",@progbits
; Kernel info:
; codeLenInByte = 1488
; TotalNumSgprs: 18
; NumVgprs: 26
; NumAgprs: 0
; TotalNumVgprs: 26
; ScratchSize: 0
; MemoryBound: 0
; FloatMode: 240
; IeeeMode: 1
; LDSByteSize: 0 bytes/workgroup (compile time only)
; SGPRBlocks: 2
; VGPRBlocks: 3
; NumSGPRsForWavesPerEU: 18
; NumVGPRsForWavesPerEU: 26
; AccumOffset: 28
; Occupancy: 8
; WaveLimiterHint : 0
; COMPUTE_PGM_RSRC2:SCRATCH_EN: 0
; COMPUTE_PGM_RSRC2:USER_SGPR: 2
; COMPUTE_PGM_RSRC2:TRAP_HANDLER: 0
; COMPUTE_PGM_RSRC2:TGID_X_EN: 1
; COMPUTE_PGM_RSRC2:TGID_Y_EN: 0
; COMPUTE_PGM_RSRC2:TGID_Z_EN: 0
; COMPUTE_PGM_RSRC2:TIDIG_COMP_CNT: 0
; COMPUTE_PGM_RSRC3_GFX90A:ACCUM_OFFSET: 6
; COMPUTE_PGM_RSRC3_GFX90A:TG_SPLIT: 0
	.section	.text._Z30fast_hadamard_transform_kernelI37fast_hadamard_transform_kernel_traitsILi32ELi9E14__hip_bfloat16EEv18HadamardParamsBase,"axG",@progbits,_Z30fast_hadamard_transform_kernelI37fast_hadamard_transform_kernel_traitsILi32ELi9E14__hip_bfloat16EEv18HadamardParamsBase,comdat
	.protected	_Z30fast_hadamard_transform_kernelI37fast_hadamard_transform_kernel_traitsILi32ELi9E14__hip_bfloat16EEv18HadamardParamsBase ; -- Begin function _Z30fast_hadamard_transform_kernelI37fast_hadamard_transform_kernel_traitsILi32ELi9E14__hip_bfloat16EEv18HadamardParamsBase
	.globl	_Z30fast_hadamard_transform_kernelI37fast_hadamard_transform_kernel_traitsILi32ELi9E14__hip_bfloat16EEv18HadamardParamsBase
	.p2align	8
	.type	_Z30fast_hadamard_transform_kernelI37fast_hadamard_transform_kernel_traitsILi32ELi9E14__hip_bfloat16EEv18HadamardParamsBase,@function
_Z30fast_hadamard_transform_kernelI37fast_hadamard_transform_kernel_traitsILi32ELi9E14__hip_bfloat16EEv18HadamardParamsBase: ; @_Z30fast_hadamard_transform_kernelI37fast_hadamard_transform_kernel_traitsILi32ELi9E14__hip_bfloat16EEv18HadamardParamsBase
; %bb.0:
	s_load_dwordx4 s[8:11], s[0:1], 0x10
	s_load_dword s13, s[0:1], 0x4
	s_load_dwordx4 s[4:7], s[0:1], 0x28
	s_ashr_i32 s3, s2, 31
	v_lshlrev_b32_e32 v1, 3, v0
	s_waitcnt lgkmcnt(0)
	s_mul_hi_u32 s12, s8, s2
	s_mul_i32 s14, s8, s3
	s_add_i32 s12, s12, s14
	s_mul_i32 s9, s9, s2
	s_load_dword s14, s[0:1], 0x44
	s_add_i32 s9, s12, s9
	s_mul_i32 s8, s8, s2
	s_lshl_b64 s[8:9], s[8:9], 1
	s_add_u32 s4, s4, s8
	s_addc_u32 s5, s5, s9
	v_cmp_gt_u32_e32 vcc, s13, v1
	v_mov_b32_e32 v10, 0
	v_lshlrev_b32_e32 v18, 4, v0
	v_mov_b32_e32 v2, 0
	v_mov_b32_e32 v3, 0
	;; [unrolled: 1-line block ×8, first 2 shown]
	s_and_saveexec_b64 s[8:9], vcc
	s_cbranch_execz .LBB32_2
; %bb.1:
	global_load_dwordx4 v[12:15], v18, s[4:5]
	s_waitcnt vmcnt(0)
	v_lshlrev_b32_e32 v8, 16, v12
	v_and_b32_e32 v9, 0xffff0000, v12
	v_lshlrev_b32_e32 v6, 16, v13
	v_and_b32_e32 v7, 0xffff0000, v13
	;; [unrolled: 2-line block ×4, first 2 shown]
.LBB32_2:
	s_or_b64 exec, exec, s[8:9]
	s_load_dword s12, s[0:1], 0x20
	s_waitcnt lgkmcnt(0)
	s_and_b32 s0, 0xffff, s14
	v_add_u32_e32 v1, s0, v0
	v_lshlrev_b32_e32 v11, 3, v1
	v_cmp_gt_u32_e64 s[0:1], s13, v11
	v_lshlrev_b32_e32 v19, 4, v1
	v_mov_b32_e32 v11, 0
	v_mov_b32_e32 v12, 0
	v_mov_b32_e32 v13, 0
	v_mov_b32_e32 v14, 0
	v_mov_b32_e32 v15, 0
	v_mov_b32_e32 v16, 0
	v_mov_b32_e32 v17, 0
	s_and_saveexec_b64 s[8:9], s[0:1]
	s_cbranch_execz .LBB32_4
; %bb.3:
	global_load_dwordx4 v[20:23], v19, s[4:5]
	s_waitcnt vmcnt(0)
	v_lshlrev_b32_e32 v16, 16, v20
	v_and_b32_e32 v17, 0xffff0000, v20
	v_lshlrev_b32_e32 v14, 16, v21
	v_and_b32_e32 v15, 0xffff0000, v21
	;; [unrolled: 2-line block ×4, first 2 shown]
.LBB32_4:
	s_or_b64 exec, exec, s[8:9]
	v_mbcnt_lo_u32_b32 v1, -1, 0
	v_pk_add_f32 v[22:23], v[2:3], v[2:3] op_sel:[0,1]
	v_pk_add_f32 v[2:3], v[2:3], v[2:3] op_sel_hi:[0,1] neg_lo:[0,1] neg_hi:[0,1]
	v_mbcnt_hi_u32_b32 v1, -1, v1
	v_and_b32_e32 v2, 64, v1
	v_add_u32_e32 v30, 64, v2
	v_xor_b32_e32 v2, 1, v1
	v_cmp_lt_i32_e64 s[4:5], v2, v30
	v_pk_add_f32 v[20:21], v[8:9], v[8:9] op_sel:[0,1]
	v_pk_add_f32 v[8:9], v[8:9], v[8:9] op_sel_hi:[0,1] neg_lo:[0,1] neg_hi:[0,1]
	v_cndmask_b32_e64 v2, v1, v2, s[4:5]
	v_mov_b32_e32 v21, v9
	v_pk_add_f32 v[8:9], v[6:7], v[6:7] op_sel:[0,1]
	v_pk_add_f32 v[6:7], v[6:7], v[6:7] op_sel_hi:[0,1] neg_lo:[0,1] neg_hi:[0,1]
	v_lshlrev_b32_e32 v32, 2, v2
	v_xor_b32_e32 v2, 2, v1
	v_mov_b32_e32 v9, v7
	v_pk_add_f32 v[6:7], v[4:5], v[4:5] op_sel:[0,1]
	v_pk_add_f32 v[4:5], v[4:5], v[4:5] op_sel_hi:[0,1] neg_lo:[0,1] neg_hi:[0,1]
	v_cmp_lt_i32_e64 s[4:5], v2, v30
	v_mov_b32_e32 v7, v5
	v_mov_b32_e32 v23, v3
	v_cndmask_b32_e64 v2, v1, v2, s[4:5]
	v_lshlrev_b32_e32 v33, 2, v2
	v_pk_add_f32 v[2:3], v[8:9], v[20:21]
	v_pk_add_f32 v[4:5], v[22:23], v[6:7]
	v_pk_add_f32 v[8:9], v[20:21], v[8:9] neg_lo:[0,1] neg_hi:[0,1]
	v_pk_add_f32 v[6:7], v[6:7], v[22:23] neg_lo:[0,1] neg_hi:[0,1]
	v_and_b32_e32 v26, 1, v0
	v_pk_add_f32 v[20:21], v[6:7], v[8:9]
	ds_bpermute_b32 v22, v32, v20
	v_cmp_eq_u32_e64 s[4:5], 0, v26
	v_pk_add_f32 v[24:25], v[4:5], v[2:3]
	v_pk_add_f32 v[6:7], v[8:9], v[6:7] neg_lo:[0,1] neg_hi:[0,1]
	v_cndmask_b32_e64 v8, -v20, v20, s[4:5]
	ds_bpermute_b32 v27, v32, v24
	s_waitcnt lgkmcnt(1)
	v_add_f32_e32 v36, v8, v22
	v_pk_add_f32 v[22:23], v[16:17], v[16:17] op_sel:[0,1]
	v_pk_add_f32 v[16:17], v[16:17], v[16:17] op_sel_hi:[0,1] neg_lo:[0,1] neg_hi:[0,1]
	v_mov_b32_e32 v23, v17
	v_pk_add_f32 v[16:17], v[14:15], v[14:15] op_sel:[0,1]
	v_pk_add_f32 v[14:15], v[14:15], v[14:15] op_sel_hi:[0,1] neg_lo:[0,1] neg_hi:[0,1]
	v_mov_b32_e32 v17, v15
	;; [unrolled: 3-line block ×3, first 2 shown]
	v_pk_add_f32 v[12:13], v[10:11], v[10:11] op_sel:[0,1]
	v_pk_add_f32 v[10:11], v[10:11], v[10:11] op_sel_hi:[0,1] neg_lo:[0,1] neg_hi:[0,1]
	v_pk_add_f32 v[2:3], v[2:3], v[4:5] neg_lo:[0,1] neg_hi:[0,1]
	v_cndmask_b32_e64 v4, -v24, v24, s[4:5]
	v_mov_b32_e32 v13, v11
	s_waitcnt lgkmcnt(0)
	v_add_f32_e32 v34, v4, v27
	v_pk_add_f32 v[10:11], v[16:17], v[22:23]
	v_pk_add_f32 v[26:27], v[12:13], v[14:15]
	v_pk_add_f32 v[16:17], v[22:23], v[16:17] neg_lo:[0,1] neg_hi:[0,1]
	v_pk_add_f32 v[28:29], v[26:27], v[10:11]
	v_pk_add_f32 v[12:13], v[14:15], v[12:13] neg_lo:[0,1] neg_hi:[0,1]
	ds_bpermute_b32 v38, v32, v28
	v_pk_add_f32 v[14:15], v[12:13], v[16:17]
	ds_bpermute_b32 v22, v32, v14
	ds_bpermute_b32 v23, v32, v15
	v_pk_add_f32 v[10:11], v[10:11], v[26:27] neg_lo:[0,1] neg_hi:[0,1]
	v_cndmask_b32_e64 v26, -v28, v28, s[4:5]
	v_pk_add_f32 v[12:13], v[16:17], v[12:13] neg_lo:[0,1] neg_hi:[0,1]
	ds_bpermute_b32 v24, v32, v25
	ds_bpermute_b32 v4, v32, v2
	;; [unrolled: 1-line block ×7, first 2 shown]
	s_waitcnt lgkmcnt(9)
	v_add_f32_e32 v38, v26, v38
	ds_bpermute_b32 v26, v32, v10
	ds_bpermute_b32 v27, v32, v11
	v_cndmask_b32_e64 v14, -v14, v14, s[4:5]
	ds_bpermute_b32 v16, v32, v12
	ds_bpermute_b32 v17, v32, v13
	s_waitcnt lgkmcnt(12)
	v_add_f32_e32 v40, v14, v22
	v_cndmask_b32_e64 v14, -v15, v15, s[4:5]
	s_waitcnt lgkmcnt(11)
	v_add_f32_e32 v32, v14, v23
	v_xor_b32_e32 v14, 4, v1
	v_cndmask_b32_e64 v25, -v25, v25, s[4:5]
	v_cndmask_b32_e64 v3, -v3, v3, s[4:5]
	;; [unrolled: 1-line block ×11, first 2 shown]
	v_cmp_lt_i32_e64 s[4:5], v14, v30
	s_waitcnt lgkmcnt(10)
	v_add_f32_e32 v35, v25, v24
	s_waitcnt lgkmcnt(8)
	v_pk_add_f32 v[4:5], v[2:3], v[4:5]
	v_cndmask_b32_e64 v14, v1, v14, s[4:5]
	s_waitcnt lgkmcnt(7)
	v_add_f32_e32 v37, v21, v20
	s_waitcnt lgkmcnt(5)
	v_pk_add_f32 v[8:9], v[6:7], v[8:9]
	s_waitcnt lgkmcnt(4)
	v_add_f32_e32 v39, v29, v28
	s_waitcnt lgkmcnt(2)
	v_pk_add_f32 v[26:27], v[10:11], v[26:27]
	s_waitcnt lgkmcnt(0)
	v_pk_add_f32 v[16:17], v[12:13], v[16:17]
	v_lshlrev_b32_e32 v41, 2, v14
	v_xor_b32_e32 v14, 8, v1
	v_and_b32_e32 v31, 2, v0
	ds_bpermute_b32 v24, v33, v34
	ds_bpermute_b32 v25, v33, v35
	;; [unrolled: 1-line block ×16, first 2 shown]
	v_and_b32_e32 v33, 4, v0
	v_and_b32_e32 v42, 8, v0
	v_cmp_lt_i32_e64 s[4:5], v14, v30
	v_and_b32_e32 v44, 16, v0
	v_xor_b32_e32 v0, 16, v1
	v_cndmask_b32_e64 v14, v1, v14, s[4:5]
	v_cmp_lt_i32_e64 s[4:5], v0, v30
	s_mul_i32 s3, s10, s3
	v_lshlrev_b32_e32 v43, 2, v14
	v_cndmask_b32_e64 v0, v1, v0, s[4:5]
	s_mul_hi_u32 s4, s10, s2
	s_add_i32 s3, s4, s3
	s_mul_i32 s4, s11, s2
	s_add_i32 s3, s3, s4
	s_mul_i32 s2, s10, s2
	s_lshl_b64 s[2:3], s[2:3], 1
	s_add_u32 s10, s6, s2
	s_addc_u32 s11, s7, s3
	v_cmp_eq_u32_e64 s[6:7], 0, v31
	v_lshlrev_b32_e32 v45, 2, v0
	v_cmp_eq_u32_e64 s[2:3], 0, v33
	v_cndmask_b32_e64 v1, -v35, v35, s[6:7]
	v_cndmask_b32_e64 v0, -v34, v34, s[6:7]
	;; [unrolled: 1-line block ×4, first 2 shown]
	s_waitcnt lgkmcnt(10)
	v_pk_add_f32 v[14:15], v[14:15], v[20:21]
	v_pk_add_f32 v[0:1], v[0:1], v[24:25]
	v_cndmask_b32_e64 v21, -v39, v39, s[6:7]
	v_cndmask_b32_e64 v20, -v38, v38, s[6:7]
	v_cndmask_b32_e64 v25, -v32, v32, s[6:7]
	v_cndmask_b32_e64 v24, -v40, v40, s[6:7]
	s_waitcnt lgkmcnt(6)
	v_pk_add_f32 v[10:11], v[20:21], v[10:11]
	ds_bpermute_b32 v20, v41, v0
	ds_bpermute_b32 v21, v41, v1
	s_waitcnt lgkmcnt(4)
	v_pk_add_f32 v[12:13], v[24:25], v[12:13]
	ds_bpermute_b32 v24, v41, v14
	ds_bpermute_b32 v25, v41, v15
	v_cndmask_b32_e64 v1, -v1, v1, s[2:3]
	v_cndmask_b32_e64 v0, -v0, v0, s[2:3]
	v_cndmask_b32_e64 v15, -v15, v15, s[2:3]
	v_cndmask_b32_e64 v14, -v14, v14, s[2:3]
	s_waitcnt lgkmcnt(2)
	v_pk_add_f32 v[0:1], v[0:1], v[20:21]
	ds_bpermute_b32 v20, v41, v10
	ds_bpermute_b32 v21, v41, v11
	s_waitcnt lgkmcnt(2)
	v_pk_add_f32 v[14:15], v[14:15], v[24:25]
	ds_bpermute_b32 v24, v41, v12
	ds_bpermute_b32 v25, v41, v13
	;; [unrolled: 12-line block ×3, first 2 shown]
	v_cmp_eq_u32_e64 s[8:9], 0, v42
	v_cmp_eq_u32_e64 s[4:5], 0, v44
	v_cndmask_b32_e64 v9, -v9, v9, s[6:7]
	v_cndmask_b32_e64 v1, -v1, v1, s[8:9]
	;; [unrolled: 1-line block ×5, first 2 shown]
	s_waitcnt lgkmcnt(2)
	v_pk_add_f32 v[0:1], v[0:1], v[20:21]
	ds_bpermute_b32 v20, v43, v10
	ds_bpermute_b32 v21, v43, v11
	s_waitcnt lgkmcnt(2)
	v_pk_add_f32 v[14:15], v[14:15], v[24:25]
	ds_bpermute_b32 v24, v43, v12
	ds_bpermute_b32 v25, v43, v13
	v_cndmask_b32_e64 v11, -v11, v11, s[8:9]
	v_cndmask_b32_e64 v10, -v10, v10, s[8:9]
	;; [unrolled: 1-line block ×4, first 2 shown]
	s_waitcnt lgkmcnt(2)
	v_pk_add_f32 v[20:21], v[10:11], v[20:21]
	s_waitcnt lgkmcnt(0)
	v_pk_add_f32 v[12:13], v[12:13], v[24:25]
	ds_bpermute_b32 v10, v45, v0
	ds_bpermute_b32 v11, v45, v1
	;; [unrolled: 1-line block ×4, first 2 shown]
	v_cndmask_b32_e64 v31, -v1, v1, s[4:5]
	v_cndmask_b32_e64 v30, -v0, v0, s[4:5]
	;; [unrolled: 1-line block ×4, first 2 shown]
	ds_bpermute_b32 v14, v45, v20
	ds_bpermute_b32 v15, v45, v21
	v_cndmask_b32_e64 v8, -v8, v8, s[6:7]
	v_cndmask_b32_e64 v21, -v21, v21, s[4:5]
	;; [unrolled: 1-line block ×3, first 2 shown]
	v_pk_add_f32 v[6:7], v[8:9], v[6:7]
	s_waitcnt lgkmcnt(0)
	v_pk_add_f32 v[14:15], v[20:21], v[14:15]
	ds_bpermute_b32 v20, v41, v6
	ds_bpermute_b32 v21, v41, v7
	v_cndmask_b32_e64 v5, -v5, v5, s[6:7]
	v_cndmask_b32_e64 v4, -v4, v4, s[6:7]
	v_pk_add_f32 v[2:3], v[4:5], v[2:3]
	v_cndmask_b32_e64 v9, -v17, v17, s[6:7]
	v_cndmask_b32_e64 v8, -v16, v16, s[6:7]
	v_pk_add_f32 v[8:9], v[8:9], v[22:23]
	ds_bpermute_b32 v16, v41, v2
	ds_bpermute_b32 v17, v41, v3
	v_cndmask_b32_e64 v7, -v7, v7, s[2:3]
	v_cndmask_b32_e64 v6, -v6, v6, s[2:3]
	s_waitcnt lgkmcnt(2)
	v_pk_add_f32 v[6:7], v[6:7], v[20:21]
	ds_bpermute_b32 v20, v41, v8
	ds_bpermute_b32 v21, v41, v9
	v_cndmask_b32_e64 v5, -v27, v27, s[6:7]
	v_cndmask_b32_e64 v4, -v26, v26, s[6:7]
	v_pk_add_f32 v[4:5], v[4:5], v[28:29]
	v_cndmask_b32_e64 v3, -v3, v3, s[2:3]
	v_cndmask_b32_e64 v2, -v2, v2, s[2:3]
	s_waitcnt lgkmcnt(2)
	v_pk_add_f32 v[2:3], v[2:3], v[16:17]
	ds_bpermute_b32 v16, v41, v4
	ds_bpermute_b32 v17, v41, v5
	v_cndmask_b32_e64 v9, -v9, v9, s[2:3]
	v_cndmask_b32_e64 v8, -v8, v8, s[2:3]
	s_waitcnt lgkmcnt(2)
	v_pk_add_f32 v[8:9], v[8:9], v[20:21]
	ds_bpermute_b32 v20, v43, v6
	ds_bpermute_b32 v21, v43, v7
	;; [unrolled: 6-line block ×7, first 2 shown]
	v_cndmask_b32_e64 v23, -v3, v3, s[4:5]
	v_cndmask_b32_e64 v22, -v2, v2, s[4:5]
	;; [unrolled: 1-line block ×4, first 2 shown]
	v_pk_add_f32 v[0:1], v[0:1], v[24:25]
	ds_bpermute_b32 v24, v45, v12
	ds_bpermute_b32 v25, v45, v13
	s_waitcnt lgkmcnt(4)
	v_pk_add_f32 v[2:3], v[2:3], v[20:21]
	ds_bpermute_b32 v20, v45, v16
	ds_bpermute_b32 v21, v45, v17
	;; [unrolled: 1-line block ×4, first 2 shown]
	v_cndmask_b32_e64 v13, -v13, v13, s[4:5]
	v_cndmask_b32_e64 v12, -v12, v12, s[4:5]
	v_cndmask_b32_e64 v17, -v17, v17, s[4:5]
	v_cndmask_b32_e64 v16, -v16, v16, s[4:5]
	v_cndmask_b32_e64 v9, -v9, v9, s[4:5]
	v_cndmask_b32_e64 v8, -v8, v8, s[4:5]
	v_pk_add_f32 v[10:11], v[30:31], v[10:11]
	s_waitcnt lgkmcnt(4)
	v_pk_add_f32 v[12:13], v[12:13], v[24:25]
	s_mov_b32 s13, s12
	v_pk_add_f32 v[4:5], v[22:23], v[4:5]
	s_waitcnt lgkmcnt(0)
	v_pk_add_f32 v[6:7], v[8:9], v[6:7]
	v_pk_add_f32 v[8:9], v[16:17], v[20:21]
	s_and_saveexec_b64 s[2:3], vcc
	s_cbranch_execnz .LBB32_7
; %bb.5:
	s_or_b64 exec, exec, s[2:3]
	s_and_saveexec_b64 s[2:3], s[0:1]
	s_cbranch_execnz .LBB32_8
.LBB32_6:
	s_endpgm
.LBB32_7:
	v_pk_add_f32 v[20:21], v[10:11], v[14:15]
	v_pk_add_f32 v[16:17], v[0:1], v[12:13]
	s_mov_b32 s4, s12
	s_mov_b32 s5, s12
	v_pk_mul_f32 v[24:25], s[12:13], v[20:21]
	v_pk_add_f32 v[20:21], v[2:3], v[6:7]
	v_pk_add_f32 v[22:23], v[4:5], v[8:9]
	v_pk_mul_f32 v[16:17], s[4:5], v[16:17]
	v_pk_mul_f32 v[20:21], s[4:5], v[20:21]
	;; [unrolled: 1-line block ×3, first 2 shown]
	v_cvt_pk_bf16_f32 v23, v20, v21
	v_cvt_pk_bf16_f32 v21, v16, v17
	;; [unrolled: 1-line block ×4, first 2 shown]
	global_store_dwordx4 v18, v[20:23], s[10:11]
	s_or_b64 exec, exec, s[2:3]
	s_and_saveexec_b64 s[2:3], s[0:1]
	s_cbranch_execz .LBB32_6
.LBB32_8:
	v_sub_f32_e32 v11, v11, v15
	v_sub_f32_e32 v10, v10, v14
	;; [unrolled: 1-line block ×4, first 2 shown]
	s_mov_b32 s0, s12
	s_mov_b32 s1, s12
	v_sub_f32_e32 v5, v5, v9
	v_sub_f32_e32 v4, v4, v8
	v_sub_f32_e32 v3, v3, v7
	v_sub_f32_e32 v2, v2, v6
	v_pk_mul_f32 v[0:1], s[0:1], v[0:1]
	v_pk_mul_f32 v[10:11], s[12:13], v[10:11]
	;; [unrolled: 1-line block ×4, first 2 shown]
	v_cvt_pk_bf16_f32 v3, v2, v3
	v_cvt_pk_bf16_f32 v2, v4, v5
	;; [unrolled: 1-line block ×4, first 2 shown]
	global_store_dwordx4 v19, v[0:3], s[10:11]
	s_endpgm
	.section	.rodata,"a",@progbits
	.p2align	6, 0x0
	.amdhsa_kernel _Z30fast_hadamard_transform_kernelI37fast_hadamard_transform_kernel_traitsILi32ELi9E14__hip_bfloat16EEv18HadamardParamsBase
		.amdhsa_group_segment_fixed_size 0
		.amdhsa_private_segment_fixed_size 0
		.amdhsa_kernarg_size 312
		.amdhsa_user_sgpr_count 2
		.amdhsa_user_sgpr_dispatch_ptr 0
		.amdhsa_user_sgpr_queue_ptr 0
		.amdhsa_user_sgpr_kernarg_segment_ptr 1
		.amdhsa_user_sgpr_dispatch_id 0
		.amdhsa_user_sgpr_kernarg_preload_length 0
		.amdhsa_user_sgpr_kernarg_preload_offset 0
		.amdhsa_user_sgpr_private_segment_size 0
		.amdhsa_uses_dynamic_stack 0
		.amdhsa_enable_private_segment 0
		.amdhsa_system_sgpr_workgroup_id_x 1
		.amdhsa_system_sgpr_workgroup_id_y 0
		.amdhsa_system_sgpr_workgroup_id_z 0
		.amdhsa_system_sgpr_workgroup_info 0
		.amdhsa_system_vgpr_workitem_id 0
		.amdhsa_next_free_vgpr 46
		.amdhsa_next_free_sgpr 15
		.amdhsa_accum_offset 48
		.amdhsa_reserve_vcc 1
		.amdhsa_float_round_mode_32 0
		.amdhsa_float_round_mode_16_64 0
		.amdhsa_float_denorm_mode_32 3
		.amdhsa_float_denorm_mode_16_64 3
		.amdhsa_dx10_clamp 1
		.amdhsa_ieee_mode 1
		.amdhsa_fp16_overflow 0
		.amdhsa_tg_split 0
		.amdhsa_exception_fp_ieee_invalid_op 0
		.amdhsa_exception_fp_denorm_src 0
		.amdhsa_exception_fp_ieee_div_zero 0
		.amdhsa_exception_fp_ieee_overflow 0
		.amdhsa_exception_fp_ieee_underflow 0
		.amdhsa_exception_fp_ieee_inexact 0
		.amdhsa_exception_int_div_zero 0
	.end_amdhsa_kernel
	.section	.text._Z30fast_hadamard_transform_kernelI37fast_hadamard_transform_kernel_traitsILi32ELi9E14__hip_bfloat16EEv18HadamardParamsBase,"axG",@progbits,_Z30fast_hadamard_transform_kernelI37fast_hadamard_transform_kernel_traitsILi32ELi9E14__hip_bfloat16EEv18HadamardParamsBase,comdat
.Lfunc_end32:
	.size	_Z30fast_hadamard_transform_kernelI37fast_hadamard_transform_kernel_traitsILi32ELi9E14__hip_bfloat16EEv18HadamardParamsBase, .Lfunc_end32-_Z30fast_hadamard_transform_kernelI37fast_hadamard_transform_kernel_traitsILi32ELi9E14__hip_bfloat16EEv18HadamardParamsBase
                                        ; -- End function
	.set _Z30fast_hadamard_transform_kernelI37fast_hadamard_transform_kernel_traitsILi32ELi9E14__hip_bfloat16EEv18HadamardParamsBase.num_vgpr, 46
	.set _Z30fast_hadamard_transform_kernelI37fast_hadamard_transform_kernel_traitsILi32ELi9E14__hip_bfloat16EEv18HadamardParamsBase.num_agpr, 0
	.set _Z30fast_hadamard_transform_kernelI37fast_hadamard_transform_kernel_traitsILi32ELi9E14__hip_bfloat16EEv18HadamardParamsBase.numbered_sgpr, 15
	.set _Z30fast_hadamard_transform_kernelI37fast_hadamard_transform_kernel_traitsILi32ELi9E14__hip_bfloat16EEv18HadamardParamsBase.num_named_barrier, 0
	.set _Z30fast_hadamard_transform_kernelI37fast_hadamard_transform_kernel_traitsILi32ELi9E14__hip_bfloat16EEv18HadamardParamsBase.private_seg_size, 0
	.set _Z30fast_hadamard_transform_kernelI37fast_hadamard_transform_kernel_traitsILi32ELi9E14__hip_bfloat16EEv18HadamardParamsBase.uses_vcc, 1
	.set _Z30fast_hadamard_transform_kernelI37fast_hadamard_transform_kernel_traitsILi32ELi9E14__hip_bfloat16EEv18HadamardParamsBase.uses_flat_scratch, 0
	.set _Z30fast_hadamard_transform_kernelI37fast_hadamard_transform_kernel_traitsILi32ELi9E14__hip_bfloat16EEv18HadamardParamsBase.has_dyn_sized_stack, 0
	.set _Z30fast_hadamard_transform_kernelI37fast_hadamard_transform_kernel_traitsILi32ELi9E14__hip_bfloat16EEv18HadamardParamsBase.has_recursion, 0
	.set _Z30fast_hadamard_transform_kernelI37fast_hadamard_transform_kernel_traitsILi32ELi9E14__hip_bfloat16EEv18HadamardParamsBase.has_indirect_call, 0
	.section	.AMDGPU.csdata,"",@progbits
; Kernel info:
; codeLenInByte = 2872
; TotalNumSgprs: 21
; NumVgprs: 46
; NumAgprs: 0
; TotalNumVgprs: 46
; ScratchSize: 0
; MemoryBound: 0
; FloatMode: 240
; IeeeMode: 1
; LDSByteSize: 0 bytes/workgroup (compile time only)
; SGPRBlocks: 2
; VGPRBlocks: 5
; NumSGPRsForWavesPerEU: 21
; NumVGPRsForWavesPerEU: 46
; AccumOffset: 48
; Occupancy: 8
; WaveLimiterHint : 0
; COMPUTE_PGM_RSRC2:SCRATCH_EN: 0
; COMPUTE_PGM_RSRC2:USER_SGPR: 2
; COMPUTE_PGM_RSRC2:TRAP_HANDLER: 0
; COMPUTE_PGM_RSRC2:TGID_X_EN: 1
; COMPUTE_PGM_RSRC2:TGID_Y_EN: 0
; COMPUTE_PGM_RSRC2:TGID_Z_EN: 0
; COMPUTE_PGM_RSRC2:TIDIG_COMP_CNT: 0
; COMPUTE_PGM_RSRC3_GFX90A:ACCUM_OFFSET: 11
; COMPUTE_PGM_RSRC3_GFX90A:TG_SPLIT: 0
	.section	.text._Z30fast_hadamard_transform_kernelI37fast_hadamard_transform_kernel_traitsILi128ELi10E14__hip_bfloat16EEv18HadamardParamsBase,"axG",@progbits,_Z30fast_hadamard_transform_kernelI37fast_hadamard_transform_kernel_traitsILi128ELi10E14__hip_bfloat16EEv18HadamardParamsBase,comdat
	.protected	_Z30fast_hadamard_transform_kernelI37fast_hadamard_transform_kernel_traitsILi128ELi10E14__hip_bfloat16EEv18HadamardParamsBase ; -- Begin function _Z30fast_hadamard_transform_kernelI37fast_hadamard_transform_kernel_traitsILi128ELi10E14__hip_bfloat16EEv18HadamardParamsBase
	.globl	_Z30fast_hadamard_transform_kernelI37fast_hadamard_transform_kernel_traitsILi128ELi10E14__hip_bfloat16EEv18HadamardParamsBase
	.p2align	8
	.type	_Z30fast_hadamard_transform_kernelI37fast_hadamard_transform_kernel_traitsILi128ELi10E14__hip_bfloat16EEv18HadamardParamsBase,@function
_Z30fast_hadamard_transform_kernelI37fast_hadamard_transform_kernel_traitsILi128ELi10E14__hip_bfloat16EEv18HadamardParamsBase: ; @_Z30fast_hadamard_transform_kernelI37fast_hadamard_transform_kernel_traitsILi128ELi10E14__hip_bfloat16EEv18HadamardParamsBase
; %bb.0:
	s_load_dword s4, s[0:1], 0x4
	v_lshlrev_b32_e32 v1, 3, v0
	v_mov_b32_e32 v2, 0
	s_ashr_i32 s3, s2, 31
	v_mov_b32_e32 v6, 0
	s_waitcnt lgkmcnt(0)
	v_cmp_gt_u32_e32 vcc, s4, v1
	v_lshlrev_b32_e32 v1, 4, v0
	v_mov_b32_e32 v4, 0
	v_mov_b32_e32 v8, 0
	;; [unrolled: 1-line block ×6, first 2 shown]
	s_and_saveexec_b64 s[4:5], vcc
	s_cbranch_execz .LBB33_2
; %bb.1:
	s_load_dwordx2 s[6:7], s[0:1], 0x10
	s_load_dwordx2 s[8:9], s[0:1], 0x28
	s_waitcnt lgkmcnt(0)
	s_mul_i32 s10, s6, s3
	s_mul_hi_u32 s11, s6, s2
	s_mul_i32 s7, s7, s2
	s_add_i32 s10, s11, s10
	s_mul_i32 s6, s6, s2
	s_add_i32 s7, s10, s7
	s_lshl_b64 s[6:7], s[6:7], 1
	s_add_u32 s6, s8, s6
	s_addc_u32 s7, s9, s7
	global_load_dwordx4 v[10:13], v1, s[6:7]
	s_waitcnt vmcnt(0)
	v_lshlrev_b32_e32 v5, 16, v10
	v_and_b32_e32 v9, 0xffff0000, v10
	v_lshlrev_b32_e32 v3, 16, v11
	v_and_b32_e32 v7, 0xffff0000, v11
	;; [unrolled: 2-line block ×4, first 2 shown]
.LBB33_2:
	s_or_b64 exec, exec, s[4:5]
	v_pk_add_f32 v[10:11], v[8:9], v[4:5]
	v_pk_add_f32 v[12:13], v[6:7], v[2:3]
	v_pk_add_f32 v[4:5], v[4:5], v[8:9] neg_lo:[0,1] neg_hi:[0,1]
	v_pk_add_f32 v[2:3], v[2:3], v[6:7] neg_lo:[0,1] neg_hi:[0,1]
	v_pk_add_f32 v[14:15], v[12:13], v[10:11]
	v_pk_add_f32 v[6:7], v[2:3], v[4:5]
	v_pk_add_f32 v[2:3], v[4:5], v[2:3] neg_lo:[0,1] neg_hi:[0,1]
	v_pk_add_f32 v[10:11], v[10:11], v[12:13] neg_lo:[0,1] neg_hi:[0,1]
	v_add_f32_e32 v18, v2, v3
	v_sub_f32_e32 v19, v3, v2
	v_mbcnt_lo_u32_b32 v2, -1, 0
	v_mbcnt_hi_u32_b32 v20, -1, v2
	v_and_b32_e32 v2, 64, v20
	v_add_u32_e32 v21, 64, v2
	v_xor_b32_e32 v2, 1, v20
	v_cmp_lt_i32_e64 s[4:5], v2, v21
	v_add_f32_e32 v12, v14, v15
	v_add_f32_e32 v13, v6, v7
	v_cndmask_b32_e64 v2, v20, v2, s[4:5]
	v_add_f32_e32 v16, v10, v11
	v_lshlrev_b32_e32 v24, 2, v2
	v_and_b32_e32 v22, 1, v0
	ds_bpermute_b32 v2, v24, v12
	ds_bpermute_b32 v3, v24, v13
	;; [unrolled: 1-line block ×4, first 2 shown]
	v_cmp_eq_u32_e64 s[14:15], 0, v22
	v_sub_f32_e32 v17, v11, v10
	v_xor_b32_e32 v25, 4, v20
	v_cndmask_b32_e64 v11, -v13, v13, s[14:15]
	v_cndmask_b32_e64 v13, -v18, v18, s[14:15]
	v_xor_b32_e32 v18, 2, v20
	v_cmp_lt_i32_e64 s[4:5], v18, v21
	v_cndmask_b32_e64 v10, -v12, v12, s[14:15]
	v_cndmask_b32_e64 v12, -v16, v16, s[14:15]
	v_cndmask_b32_e64 v18, v20, v18, s[4:5]
	v_lshlrev_b32_e32 v18, 2, v18
	v_cmp_lt_i32_e64 s[4:5], v25, v21
	v_xor_b32_e32 v27, 8, v20
	s_waitcnt lgkmcnt(0)
	v_pk_add_f32 v[4:5], v[12:13], v[4:5]
	v_pk_add_f32 v[2:3], v[10:11], v[2:3]
	v_cndmask_b32_e64 v25, v20, v25, s[4:5]
	v_cmp_lt_i32_e64 s[4:5], v27, v21
	v_xor_b32_e32 v29, 16, v20
	ds_bpermute_b32 v10, v18, v2
	ds_bpermute_b32 v11, v18, v3
	;; [unrolled: 1-line block ×4, first 2 shown]
	v_cndmask_b32_e64 v27, v20, v27, s[4:5]
	v_cmp_lt_i32_e64 s[4:5], v29, v21
	v_xor_b32_e32 v31, 32, v20
	v_and_b32_e32 v23, 2, v0
	v_cndmask_b32_e64 v29, v20, v29, s[4:5]
	v_cmp_lt_i32_e64 s[4:5], v31, v21
	v_lshlrev_b32_e32 v25, 2, v25
	ds_bpermute_b32 v8, v24, v17
	v_cndmask_b32_e64 v20, v20, v31, s[4:5]
	v_cmp_eq_u32_e64 s[4:5], 0, v23
	ds_bpermute_b32 v9, v24, v19
	v_cndmask_b32_e64 v16, -v17, v17, s[14:15]
	v_cndmask_b32_e64 v3, -v3, v3, s[4:5]
	;; [unrolled: 1-line block ×5, first 2 shown]
	s_waitcnt lgkmcnt(2)
	v_pk_add_f32 v[4:5], v[4:5], v[12:13]
	v_pk_add_f32 v[2:3], v[2:3], v[10:11]
	ds_bpermute_b32 v10, v25, v2
	ds_bpermute_b32 v11, v25, v3
	;; [unrolled: 1-line block ×4, first 2 shown]
	v_cndmask_b32_e64 v17, -v19, v19, s[14:15]
	v_and_b32_e32 v19, 4, v0
	v_cmp_eq_u32_e64 s[6:7], 0, v19
	v_lshlrev_b32_e32 v27, 2, v27
	v_and_b32_e32 v26, 8, v0
	v_cndmask_b32_e64 v3, -v3, v3, s[6:7]
	v_cndmask_b32_e64 v2, -v2, v2, s[6:7]
	;; [unrolled: 1-line block ×4, first 2 shown]
	s_waitcnt lgkmcnt(0)
	v_pk_add_f32 v[4:5], v[4:5], v[12:13]
	v_pk_add_f32 v[2:3], v[2:3], v[10:11]
	ds_bpermute_b32 v10, v27, v2
	ds_bpermute_b32 v11, v27, v3
	ds_bpermute_b32 v12, v27, v4
	ds_bpermute_b32 v13, v27, v5
	v_cmp_eq_u32_e64 s[8:9], 0, v26
	v_lshlrev_b32_e32 v29, 2, v29
	v_and_b32_e32 v28, 16, v0
	v_cndmask_b32_e64 v3, -v3, v3, s[8:9]
	v_cndmask_b32_e64 v2, -v2, v2, s[8:9]
	;; [unrolled: 1-line block ×4, first 2 shown]
	s_waitcnt lgkmcnt(0)
	v_pk_add_f32 v[4:5], v[4:5], v[12:13]
	v_pk_add_f32 v[2:3], v[2:3], v[10:11]
	ds_bpermute_b32 v10, v29, v2
	ds_bpermute_b32 v11, v29, v3
	;; [unrolled: 1-line block ×4, first 2 shown]
	v_cmp_eq_u32_e64 s[10:11], 0, v28
	v_lshlrev_b32_e32 v20, 2, v20
	v_sub_f32_e32 v14, v15, v14
	v_cndmask_b32_e64 v3, -v3, v3, s[10:11]
	v_cndmask_b32_e64 v2, -v2, v2, s[10:11]
	;; [unrolled: 1-line block ×4, first 2 shown]
	s_waitcnt lgkmcnt(0)
	v_pk_add_f32 v[4:5], v[4:5], v[12:13]
	v_pk_add_f32 v[2:3], v[2:3], v[10:11]
	v_sub_f32_e32 v15, v7, v6
	ds_bpermute_b32 v10, v20, v2
	ds_bpermute_b32 v11, v20, v3
	;; [unrolled: 1-line block ×6, first 2 shown]
	v_and_b32_e32 v30, 32, v0
	v_lshrrev_b32_e32 v21, 6, v0
	v_cmp_eq_u32_e64 s[12:13], 0, v30
	v_lshrrev_b32_e32 v31, 1, v0
	v_xor_b32_e32 v0, v21, v0
	v_cndmask_b32_e64 v3, -v3, v3, s[12:13]
	v_cndmask_b32_e64 v2, -v2, v2, s[12:13]
	;; [unrolled: 1-line block ×6, first 2 shown]
	v_lshl_add_u32 v0, v0, 4, 0
	s_waitcnt lgkmcnt(2)
	v_pk_add_f32 v[4:5], v[4:5], v[12:13]
	v_pk_add_f32 v[2:3], v[2:3], v[10:11]
	s_waitcnt lgkmcnt(0)
	s_barrier
	ds_write_b128 v0, v[2:5]
	v_pk_add_f32 v[2:3], v[16:17], v[8:9]
	v_pk_add_f32 v[4:5], v[14:15], v[6:7]
	ds_bpermute_b32 v6, v18, v4
	ds_bpermute_b32 v7, v18, v5
	ds_bpermute_b32 v8, v18, v2
	ds_bpermute_b32 v9, v18, v3
	v_cndmask_b32_e64 v5, -v5, v5, s[4:5]
	v_cndmask_b32_e64 v4, -v4, v4, s[4:5]
	v_cndmask_b32_e64 v3, -v3, v3, s[4:5]
	v_cndmask_b32_e64 v2, -v2, v2, s[4:5]
	s_waitcnt lgkmcnt(0)
	v_pk_add_f32 v[2:3], v[2:3], v[8:9]
	v_pk_add_f32 v[4:5], v[4:5], v[6:7]
	ds_bpermute_b32 v6, v25, v4
	ds_bpermute_b32 v7, v25, v5
	ds_bpermute_b32 v8, v25, v2
	ds_bpermute_b32 v9, v25, v3
	v_cndmask_b32_e64 v5, -v5, v5, s[6:7]
	v_cndmask_b32_e64 v4, -v4, v4, s[6:7]
	v_cndmask_b32_e64 v3, -v3, v3, s[6:7]
	v_cndmask_b32_e64 v2, -v2, v2, s[6:7]
	s_waitcnt lgkmcnt(0)
	;; [unrolled: 11-line block ×4, first 2 shown]
	v_pk_add_f32 v[2:3], v[2:3], v[8:9]
	v_pk_add_f32 v[4:5], v[4:5], v[6:7]
	ds_bpermute_b32 v6, v20, v4
	ds_bpermute_b32 v7, v20, v5
	;; [unrolled: 1-line block ×4, first 2 shown]
	v_lshlrev_b32_e32 v21, 6, v22
	v_bitop3_b32 v21, v21, v22, v31 bitop3:0x36
	v_cndmask_b32_e64 v11, -v5, v5, s[12:13]
	v_cndmask_b32_e64 v10, -v4, v4, s[12:13]
	;; [unrolled: 1-line block ×4, first 2 shown]
	s_waitcnt lgkmcnt(0)
	v_pk_add_f32 v[4:5], v[2:3], v[8:9]
	v_pk_add_f32 v[2:3], v[10:11], v[6:7]
	v_lshl_add_u32 v14, v21, 4, 0
	ds_write_b128 v0, v[2:5] offset:2048
	s_waitcnt lgkmcnt(0)
	s_barrier
	ds_read_b128 v[2:5], v14
	ds_read_b128 v[6:9], v14 offset:2048
	s_waitcnt lgkmcnt(0)
	s_barrier
	ds_bpermute_b32 v10, v24, v2
	ds_bpermute_b32 v11, v24, v3
	;; [unrolled: 1-line block ×4, first 2 shown]
	v_cndmask_b32_e64 v3, -v3, v3, s[14:15]
	v_cndmask_b32_e64 v2, -v2, v2, s[14:15]
	;; [unrolled: 1-line block ×4, first 2 shown]
	s_waitcnt lgkmcnt(2)
	v_pk_add_f32 v[2:3], v[2:3], v[10:11]
	s_waitcnt lgkmcnt(0)
	v_pk_add_f32 v[4:5], v[4:5], v[12:13]
	ds_bpermute_b32 v10, v24, v6
	ds_bpermute_b32 v11, v24, v7
	;; [unrolled: 1-line block ×4, first 2 shown]
	v_cndmask_b32_e64 v7, -v7, v7, s[14:15]
	v_cndmask_b32_e64 v6, -v6, v6, s[14:15]
	;; [unrolled: 1-line block ×4, first 2 shown]
	s_waitcnt lgkmcnt(2)
	v_pk_add_f32 v[6:7], v[6:7], v[10:11]
	s_waitcnt lgkmcnt(0)
	v_pk_add_f32 v[8:9], v[8:9], v[12:13]
	ds_write_b128 v14, v[2:5]
	ds_write_b128 v14, v[6:9] offset:2048
	s_waitcnt lgkmcnt(0)
	s_barrier
	s_and_saveexec_b64 s[4:5], vcc
	s_cbranch_execz .LBB33_4
; %bb.3:
	s_load_dwordx2 s[4:5], s[0:1], 0x18
	s_load_dwordx2 s[6:7], s[0:1], 0x30
	s_load_dword s8, s[0:1], 0x20
	ds_read_b128 v[2:5], v0
	ds_read_b128 v[6:9], v0 offset:2048
	s_waitcnt lgkmcnt(0)
	s_mul_i32 s0, s4, s3
	s_mul_hi_u32 s1, s4, s2
	s_mul_i32 s3, s5, s2
	s_add_i32 s0, s1, s0
	s_add_i32 s1, s0, s3
	s_mul_i32 s0, s4, s2
	s_lshl_b64 s[0:1], s[0:1], 1
	s_add_u32 s0, s6, s0
	v_pk_mul_f32 v[10:11], s[8:9], v[4:5] op_sel_hi:[0,1]
	v_pk_mul_f32 v[12:13], s[8:9], v[2:3] op_sel_hi:[0,1]
	;; [unrolled: 1-line block ×4, first 2 shown]
	s_addc_u32 s1, s7, s1
	v_cvt_pk_bf16_f32 v5, v2, v3
	v_cvt_pk_bf16_f32 v3, v10, v11
	;; [unrolled: 1-line block ×4, first 2 shown]
	global_store_dwordx4 v1, v[2:5], s[0:1]
.LBB33_4:
	s_endpgm
	.section	.rodata,"a",@progbits
	.p2align	6, 0x0
	.amdhsa_kernel _Z30fast_hadamard_transform_kernelI37fast_hadamard_transform_kernel_traitsILi128ELi10E14__hip_bfloat16EEv18HadamardParamsBase
		.amdhsa_group_segment_fixed_size 0
		.amdhsa_private_segment_fixed_size 0
		.amdhsa_kernarg_size 56
		.amdhsa_user_sgpr_count 2
		.amdhsa_user_sgpr_dispatch_ptr 0
		.amdhsa_user_sgpr_queue_ptr 0
		.amdhsa_user_sgpr_kernarg_segment_ptr 1
		.amdhsa_user_sgpr_dispatch_id 0
		.amdhsa_user_sgpr_kernarg_preload_length 0
		.amdhsa_user_sgpr_kernarg_preload_offset 0
		.amdhsa_user_sgpr_private_segment_size 0
		.amdhsa_uses_dynamic_stack 0
		.amdhsa_enable_private_segment 0
		.amdhsa_system_sgpr_workgroup_id_x 1
		.amdhsa_system_sgpr_workgroup_id_y 0
		.amdhsa_system_sgpr_workgroup_id_z 0
		.amdhsa_system_sgpr_workgroup_info 0
		.amdhsa_system_vgpr_workitem_id 0
		.amdhsa_next_free_vgpr 32
		.amdhsa_next_free_sgpr 16
		.amdhsa_accum_offset 32
		.amdhsa_reserve_vcc 1
		.amdhsa_float_round_mode_32 0
		.amdhsa_float_round_mode_16_64 0
		.amdhsa_float_denorm_mode_32 3
		.amdhsa_float_denorm_mode_16_64 3
		.amdhsa_dx10_clamp 1
		.amdhsa_ieee_mode 1
		.amdhsa_fp16_overflow 0
		.amdhsa_tg_split 0
		.amdhsa_exception_fp_ieee_invalid_op 0
		.amdhsa_exception_fp_denorm_src 0
		.amdhsa_exception_fp_ieee_div_zero 0
		.amdhsa_exception_fp_ieee_overflow 0
		.amdhsa_exception_fp_ieee_underflow 0
		.amdhsa_exception_fp_ieee_inexact 0
		.amdhsa_exception_int_div_zero 0
	.end_amdhsa_kernel
	.section	.text._Z30fast_hadamard_transform_kernelI37fast_hadamard_transform_kernel_traitsILi128ELi10E14__hip_bfloat16EEv18HadamardParamsBase,"axG",@progbits,_Z30fast_hadamard_transform_kernelI37fast_hadamard_transform_kernel_traitsILi128ELi10E14__hip_bfloat16EEv18HadamardParamsBase,comdat
.Lfunc_end33:
	.size	_Z30fast_hadamard_transform_kernelI37fast_hadamard_transform_kernel_traitsILi128ELi10E14__hip_bfloat16EEv18HadamardParamsBase, .Lfunc_end33-_Z30fast_hadamard_transform_kernelI37fast_hadamard_transform_kernel_traitsILi128ELi10E14__hip_bfloat16EEv18HadamardParamsBase
                                        ; -- End function
	.set _Z30fast_hadamard_transform_kernelI37fast_hadamard_transform_kernel_traitsILi128ELi10E14__hip_bfloat16EEv18HadamardParamsBase.num_vgpr, 32
	.set _Z30fast_hadamard_transform_kernelI37fast_hadamard_transform_kernel_traitsILi128ELi10E14__hip_bfloat16EEv18HadamardParamsBase.num_agpr, 0
	.set _Z30fast_hadamard_transform_kernelI37fast_hadamard_transform_kernel_traitsILi128ELi10E14__hip_bfloat16EEv18HadamardParamsBase.numbered_sgpr, 16
	.set _Z30fast_hadamard_transform_kernelI37fast_hadamard_transform_kernel_traitsILi128ELi10E14__hip_bfloat16EEv18HadamardParamsBase.num_named_barrier, 0
	.set _Z30fast_hadamard_transform_kernelI37fast_hadamard_transform_kernel_traitsILi128ELi10E14__hip_bfloat16EEv18HadamardParamsBase.private_seg_size, 0
	.set _Z30fast_hadamard_transform_kernelI37fast_hadamard_transform_kernel_traitsILi128ELi10E14__hip_bfloat16EEv18HadamardParamsBase.uses_vcc, 1
	.set _Z30fast_hadamard_transform_kernelI37fast_hadamard_transform_kernel_traitsILi128ELi10E14__hip_bfloat16EEv18HadamardParamsBase.uses_flat_scratch, 0
	.set _Z30fast_hadamard_transform_kernelI37fast_hadamard_transform_kernel_traitsILi128ELi10E14__hip_bfloat16EEv18HadamardParamsBase.has_dyn_sized_stack, 0
	.set _Z30fast_hadamard_transform_kernelI37fast_hadamard_transform_kernel_traitsILi128ELi10E14__hip_bfloat16EEv18HadamardParamsBase.has_recursion, 0
	.set _Z30fast_hadamard_transform_kernelI37fast_hadamard_transform_kernel_traitsILi128ELi10E14__hip_bfloat16EEv18HadamardParamsBase.has_indirect_call, 0
	.section	.AMDGPU.csdata,"",@progbits
; Kernel info:
; codeLenInByte = 1988
; TotalNumSgprs: 22
; NumVgprs: 32
; NumAgprs: 0
; TotalNumVgprs: 32
; ScratchSize: 0
; MemoryBound: 0
; FloatMode: 240
; IeeeMode: 1
; LDSByteSize: 0 bytes/workgroup (compile time only)
; SGPRBlocks: 2
; VGPRBlocks: 3
; NumSGPRsForWavesPerEU: 22
; NumVGPRsForWavesPerEU: 32
; AccumOffset: 32
; Occupancy: 8
; WaveLimiterHint : 0
; COMPUTE_PGM_RSRC2:SCRATCH_EN: 0
; COMPUTE_PGM_RSRC2:USER_SGPR: 2
; COMPUTE_PGM_RSRC2:TRAP_HANDLER: 0
; COMPUTE_PGM_RSRC2:TGID_X_EN: 1
; COMPUTE_PGM_RSRC2:TGID_Y_EN: 0
; COMPUTE_PGM_RSRC2:TGID_Z_EN: 0
; COMPUTE_PGM_RSRC2:TIDIG_COMP_CNT: 0
; COMPUTE_PGM_RSRC3_GFX90A:ACCUM_OFFSET: 7
; COMPUTE_PGM_RSRC3_GFX90A:TG_SPLIT: 0
	.section	.text._Z30fast_hadamard_transform_kernelI37fast_hadamard_transform_kernel_traitsILi256ELi11E14__hip_bfloat16EEv18HadamardParamsBase,"axG",@progbits,_Z30fast_hadamard_transform_kernelI37fast_hadamard_transform_kernel_traitsILi256ELi11E14__hip_bfloat16EEv18HadamardParamsBase,comdat
	.protected	_Z30fast_hadamard_transform_kernelI37fast_hadamard_transform_kernel_traitsILi256ELi11E14__hip_bfloat16EEv18HadamardParamsBase ; -- Begin function _Z30fast_hadamard_transform_kernelI37fast_hadamard_transform_kernel_traitsILi256ELi11E14__hip_bfloat16EEv18HadamardParamsBase
	.globl	_Z30fast_hadamard_transform_kernelI37fast_hadamard_transform_kernel_traitsILi256ELi11E14__hip_bfloat16EEv18HadamardParamsBase
	.p2align	8
	.type	_Z30fast_hadamard_transform_kernelI37fast_hadamard_transform_kernel_traitsILi256ELi11E14__hip_bfloat16EEv18HadamardParamsBase,@function
_Z30fast_hadamard_transform_kernelI37fast_hadamard_transform_kernel_traitsILi256ELi11E14__hip_bfloat16EEv18HadamardParamsBase: ; @_Z30fast_hadamard_transform_kernelI37fast_hadamard_transform_kernel_traitsILi256ELi11E14__hip_bfloat16EEv18HadamardParamsBase
; %bb.0:
	s_load_dword s4, s[0:1], 0x4
	v_lshlrev_b32_e32 v1, 3, v0
	v_mov_b32_e32 v2, 0
	s_ashr_i32 s3, s2, 31
	v_mov_b32_e32 v6, 0
	s_waitcnt lgkmcnt(0)
	v_cmp_gt_u32_e32 vcc, s4, v1
	v_lshlrev_b32_e32 v1, 4, v0
	v_mov_b32_e32 v4, 0
	v_mov_b32_e32 v8, 0
	;; [unrolled: 1-line block ×6, first 2 shown]
	s_and_saveexec_b64 s[4:5], vcc
	s_cbranch_execz .LBB34_2
; %bb.1:
	s_load_dwordx2 s[6:7], s[0:1], 0x10
	s_load_dwordx2 s[8:9], s[0:1], 0x28
	s_waitcnt lgkmcnt(0)
	s_mul_i32 s10, s6, s3
	s_mul_hi_u32 s11, s6, s2
	s_mul_i32 s7, s7, s2
	s_add_i32 s10, s11, s10
	s_mul_i32 s6, s6, s2
	s_add_i32 s7, s10, s7
	s_lshl_b64 s[6:7], s[6:7], 1
	s_add_u32 s6, s8, s6
	s_addc_u32 s7, s9, s7
	global_load_dwordx4 v[10:13], v1, s[6:7]
	s_waitcnt vmcnt(0)
	v_lshlrev_b32_e32 v5, 16, v10
	v_and_b32_e32 v9, 0xffff0000, v10
	v_lshlrev_b32_e32 v3, 16, v11
	v_and_b32_e32 v7, 0xffff0000, v11
	;; [unrolled: 2-line block ×4, first 2 shown]
.LBB34_2:
	s_or_b64 exec, exec, s[4:5]
	v_pk_add_f32 v[10:11], v[8:9], v[4:5]
	v_pk_add_f32 v[12:13], v[6:7], v[2:3]
	v_pk_add_f32 v[4:5], v[4:5], v[8:9] neg_lo:[0,1] neg_hi:[0,1]
	v_pk_add_f32 v[2:3], v[2:3], v[6:7] neg_lo:[0,1] neg_hi:[0,1]
	v_pk_add_f32 v[14:15], v[12:13], v[10:11]
	v_pk_add_f32 v[6:7], v[2:3], v[4:5]
	v_pk_add_f32 v[2:3], v[4:5], v[2:3] neg_lo:[0,1] neg_hi:[0,1]
	v_pk_add_f32 v[10:11], v[10:11], v[12:13] neg_lo:[0,1] neg_hi:[0,1]
	v_add_f32_e32 v18, v2, v3
	v_sub_f32_e32 v19, v3, v2
	v_mbcnt_lo_u32_b32 v2, -1, 0
	v_mbcnt_hi_u32_b32 v20, -1, v2
	v_and_b32_e32 v2, 64, v20
	v_add_u32_e32 v21, 64, v2
	v_xor_b32_e32 v2, 1, v20
	v_cmp_lt_i32_e64 s[4:5], v2, v21
	v_add_f32_e32 v12, v14, v15
	v_add_f32_e32 v13, v6, v7
	v_cndmask_b32_e64 v2, v20, v2, s[4:5]
	v_add_f32_e32 v16, v10, v11
	v_lshlrev_b32_e32 v23, 2, v2
	v_sub_f32_e32 v17, v11, v10
	v_and_b32_e32 v10, 1, v0
	ds_bpermute_b32 v2, v23, v12
	ds_bpermute_b32 v3, v23, v13
	;; [unrolled: 1-line block ×4, first 2 shown]
	v_cmp_eq_u32_e64 s[14:15], 0, v10
	v_xor_b32_e32 v24, 4, v20
	v_xor_b32_e32 v26, 8, v20
	v_cndmask_b32_e64 v11, -v13, v13, s[14:15]
	v_cndmask_b32_e64 v13, -v18, v18, s[14:15]
	v_xor_b32_e32 v18, 2, v20
	v_cmp_lt_i32_e64 s[4:5], v18, v21
	v_cndmask_b32_e64 v10, -v12, v12, s[14:15]
	v_cndmask_b32_e64 v12, -v16, v16, s[14:15]
	v_cndmask_b32_e64 v18, v20, v18, s[4:5]
	v_lshlrev_b32_e32 v18, 2, v18
	v_cmp_lt_i32_e64 s[4:5], v24, v21
	s_waitcnt lgkmcnt(0)
	v_pk_add_f32 v[4:5], v[12:13], v[4:5]
	v_pk_add_f32 v[2:3], v[10:11], v[2:3]
	v_cndmask_b32_e64 v24, v20, v24, s[4:5]
	v_cmp_lt_i32_e64 s[4:5], v26, v21
	v_xor_b32_e32 v28, 16, v20
	ds_bpermute_b32 v10, v18, v2
	ds_bpermute_b32 v11, v18, v3
	;; [unrolled: 1-line block ×4, first 2 shown]
	v_cndmask_b32_e64 v26, v20, v26, s[4:5]
	v_cmp_lt_i32_e64 s[4:5], v28, v21
	v_xor_b32_e32 v30, 32, v20
	v_and_b32_e32 v22, 2, v0
	v_cndmask_b32_e64 v28, v20, v28, s[4:5]
	v_cmp_lt_i32_e64 s[4:5], v30, v21
	v_lshlrev_b32_e32 v24, 2, v24
	ds_bpermute_b32 v8, v23, v17
	v_cndmask_b32_e64 v20, v20, v30, s[4:5]
	v_cmp_eq_u32_e64 s[4:5], 0, v22
	ds_bpermute_b32 v9, v23, v19
	v_cndmask_b32_e64 v16, -v17, v17, s[14:15]
	v_cndmask_b32_e64 v3, -v3, v3, s[4:5]
	;; [unrolled: 1-line block ×5, first 2 shown]
	s_waitcnt lgkmcnt(2)
	v_pk_add_f32 v[4:5], v[4:5], v[12:13]
	v_pk_add_f32 v[2:3], v[2:3], v[10:11]
	ds_bpermute_b32 v10, v24, v2
	ds_bpermute_b32 v11, v24, v3
	ds_bpermute_b32 v12, v24, v4
	ds_bpermute_b32 v13, v24, v5
	v_cndmask_b32_e64 v17, -v19, v19, s[14:15]
	v_and_b32_e32 v19, 4, v0
	v_cmp_eq_u32_e64 s[6:7], 0, v19
	v_lshlrev_b32_e32 v26, 2, v26
	v_and_b32_e32 v25, 8, v0
	v_cndmask_b32_e64 v3, -v3, v3, s[6:7]
	v_cndmask_b32_e64 v2, -v2, v2, s[6:7]
	;; [unrolled: 1-line block ×4, first 2 shown]
	s_waitcnt lgkmcnt(0)
	v_pk_add_f32 v[4:5], v[4:5], v[12:13]
	v_pk_add_f32 v[2:3], v[2:3], v[10:11]
	ds_bpermute_b32 v10, v26, v2
	ds_bpermute_b32 v11, v26, v3
	;; [unrolled: 1-line block ×4, first 2 shown]
	v_cmp_eq_u32_e64 s[8:9], 0, v25
	v_lshlrev_b32_e32 v28, 2, v28
	v_and_b32_e32 v27, 16, v0
	v_cndmask_b32_e64 v3, -v3, v3, s[8:9]
	v_cndmask_b32_e64 v2, -v2, v2, s[8:9]
	;; [unrolled: 1-line block ×4, first 2 shown]
	s_waitcnt lgkmcnt(0)
	v_pk_add_f32 v[4:5], v[4:5], v[12:13]
	v_pk_add_f32 v[2:3], v[2:3], v[10:11]
	ds_bpermute_b32 v10, v28, v2
	ds_bpermute_b32 v11, v28, v3
	;; [unrolled: 1-line block ×4, first 2 shown]
	v_cmp_eq_u32_e64 s[10:11], 0, v27
	v_lshlrev_b32_e32 v20, 2, v20
	v_sub_f32_e32 v14, v15, v14
	v_cndmask_b32_e64 v3, -v3, v3, s[10:11]
	v_cndmask_b32_e64 v2, -v2, v2, s[10:11]
	;; [unrolled: 1-line block ×4, first 2 shown]
	s_waitcnt lgkmcnt(0)
	v_pk_add_f32 v[4:5], v[4:5], v[12:13]
	v_pk_add_f32 v[2:3], v[2:3], v[10:11]
	v_sub_f32_e32 v15, v7, v6
	ds_bpermute_b32 v10, v20, v2
	ds_bpermute_b32 v11, v20, v3
	;; [unrolled: 1-line block ×6, first 2 shown]
	v_and_b32_e32 v29, 32, v0
	v_lshrrev_b32_e32 v21, 6, v0
	v_cmp_eq_u32_e64 s[12:13], 0, v29
	v_and_b32_e32 v30, 3, v0
	v_lshrrev_b32_e32 v31, 2, v0
	v_xor_b32_e32 v0, v21, v0
	v_cndmask_b32_e64 v3, -v3, v3, s[12:13]
	v_cndmask_b32_e64 v2, -v2, v2, s[12:13]
	;; [unrolled: 1-line block ×6, first 2 shown]
	v_lshl_add_u32 v0, v0, 4, 0
	s_waitcnt lgkmcnt(2)
	v_pk_add_f32 v[4:5], v[4:5], v[12:13]
	v_pk_add_f32 v[2:3], v[2:3], v[10:11]
	s_waitcnt lgkmcnt(0)
	s_barrier
	ds_write_b128 v0, v[2:5]
	v_pk_add_f32 v[2:3], v[16:17], v[8:9]
	v_pk_add_f32 v[4:5], v[14:15], v[6:7]
	ds_bpermute_b32 v6, v18, v4
	ds_bpermute_b32 v7, v18, v5
	ds_bpermute_b32 v8, v18, v2
	ds_bpermute_b32 v9, v18, v3
	v_cndmask_b32_e64 v5, -v5, v5, s[4:5]
	v_cndmask_b32_e64 v4, -v4, v4, s[4:5]
	v_cndmask_b32_e64 v3, -v3, v3, s[4:5]
	v_cndmask_b32_e64 v2, -v2, v2, s[4:5]
	s_waitcnt lgkmcnt(0)
	v_pk_add_f32 v[2:3], v[2:3], v[8:9]
	v_pk_add_f32 v[4:5], v[4:5], v[6:7]
	ds_bpermute_b32 v6, v24, v4
	ds_bpermute_b32 v7, v24, v5
	ds_bpermute_b32 v8, v24, v2
	ds_bpermute_b32 v9, v24, v3
	v_cndmask_b32_e64 v5, -v5, v5, s[6:7]
	v_cndmask_b32_e64 v4, -v4, v4, s[6:7]
	v_cndmask_b32_e64 v3, -v3, v3, s[6:7]
	v_cndmask_b32_e64 v2, -v2, v2, s[6:7]
	s_waitcnt lgkmcnt(0)
	;; [unrolled: 11-line block ×4, first 2 shown]
	v_pk_add_f32 v[2:3], v[2:3], v[8:9]
	v_pk_add_f32 v[4:5], v[4:5], v[6:7]
	ds_bpermute_b32 v6, v20, v4
	ds_bpermute_b32 v7, v20, v5
	;; [unrolled: 1-line block ×4, first 2 shown]
	v_lshlrev_b32_e32 v21, 6, v30
	v_bitop3_b32 v21, v21, v30, v31 bitop3:0x36
	v_cndmask_b32_e64 v11, -v5, v5, s[12:13]
	v_cndmask_b32_e64 v10, -v4, v4, s[12:13]
	;; [unrolled: 1-line block ×4, first 2 shown]
	s_waitcnt lgkmcnt(0)
	v_pk_add_f32 v[4:5], v[2:3], v[8:9]
	v_pk_add_f32 v[2:3], v[10:11], v[6:7]
	v_lshl_add_u32 v14, v21, 4, 0
	ds_write_b128 v0, v[2:5] offset:4096
	s_waitcnt lgkmcnt(0)
	s_barrier
	ds_read_b128 v[2:5], v14
	ds_read_b128 v[6:9], v14 offset:4096
	s_waitcnt lgkmcnt(0)
	s_barrier
	ds_bpermute_b32 v10, v23, v2
	ds_bpermute_b32 v11, v23, v3
	ds_bpermute_b32 v12, v23, v4
	ds_bpermute_b32 v13, v23, v5
	v_cndmask_b32_e64 v3, -v3, v3, s[14:15]
	v_cndmask_b32_e64 v2, -v2, v2, s[14:15]
	v_cndmask_b32_e64 v5, -v5, v5, s[14:15]
	v_cndmask_b32_e64 v4, -v4, v4, s[14:15]
	s_waitcnt lgkmcnt(0)
	v_pk_add_f32 v[4:5], v[4:5], v[12:13]
	v_pk_add_f32 v[2:3], v[2:3], v[10:11]
	ds_bpermute_b32 v10, v18, v2
	ds_bpermute_b32 v11, v18, v3
	ds_bpermute_b32 v12, v18, v4
	ds_bpermute_b32 v13, v18, v5
	v_cndmask_b32_e64 v3, -v3, v3, s[4:5]
	v_cndmask_b32_e64 v2, -v2, v2, s[4:5]
	v_cndmask_b32_e64 v5, -v5, v5, s[4:5]
	v_cndmask_b32_e64 v4, -v4, v4, s[4:5]
	s_waitcnt lgkmcnt(0)
	v_pk_add_f32 v[4:5], v[4:5], v[12:13]
	v_pk_add_f32 v[2:3], v[2:3], v[10:11]
	;; [unrolled: 11-line block ×4, first 2 shown]
	ds_write_b128 v14, v[2:5]
	ds_write_b128 v14, v[6:9] offset:4096
	s_waitcnt lgkmcnt(0)
	s_barrier
	s_and_saveexec_b64 s[4:5], vcc
	s_cbranch_execz .LBB34_4
; %bb.3:
	s_load_dwordx2 s[4:5], s[0:1], 0x18
	s_load_dwordx2 s[6:7], s[0:1], 0x30
	s_load_dword s8, s[0:1], 0x20
	ds_read_b128 v[2:5], v0
	ds_read_b128 v[6:9], v0 offset:4096
	s_waitcnt lgkmcnt(0)
	s_mul_i32 s0, s4, s3
	s_mul_hi_u32 s1, s4, s2
	s_mul_i32 s3, s5, s2
	s_add_i32 s0, s1, s0
	s_add_i32 s1, s0, s3
	s_mul_i32 s0, s4, s2
	s_lshl_b64 s[0:1], s[0:1], 1
	s_add_u32 s0, s6, s0
	v_pk_mul_f32 v[10:11], s[8:9], v[4:5] op_sel_hi:[0,1]
	v_pk_mul_f32 v[12:13], s[8:9], v[2:3] op_sel_hi:[0,1]
	;; [unrolled: 1-line block ×4, first 2 shown]
	s_addc_u32 s1, s7, s1
	v_cvt_pk_bf16_f32 v5, v2, v3
	v_cvt_pk_bf16_f32 v3, v10, v11
	;; [unrolled: 1-line block ×4, first 2 shown]
	global_store_dwordx4 v1, v[2:5], s[0:1]
.LBB34_4:
	s_endpgm
	.section	.rodata,"a",@progbits
	.p2align	6, 0x0
	.amdhsa_kernel _Z30fast_hadamard_transform_kernelI37fast_hadamard_transform_kernel_traitsILi256ELi11E14__hip_bfloat16EEv18HadamardParamsBase
		.amdhsa_group_segment_fixed_size 0
		.amdhsa_private_segment_fixed_size 0
		.amdhsa_kernarg_size 56
		.amdhsa_user_sgpr_count 2
		.amdhsa_user_sgpr_dispatch_ptr 0
		.amdhsa_user_sgpr_queue_ptr 0
		.amdhsa_user_sgpr_kernarg_segment_ptr 1
		.amdhsa_user_sgpr_dispatch_id 0
		.amdhsa_user_sgpr_kernarg_preload_length 0
		.amdhsa_user_sgpr_kernarg_preload_offset 0
		.amdhsa_user_sgpr_private_segment_size 0
		.amdhsa_uses_dynamic_stack 0
		.amdhsa_enable_private_segment 0
		.amdhsa_system_sgpr_workgroup_id_x 1
		.amdhsa_system_sgpr_workgroup_id_y 0
		.amdhsa_system_sgpr_workgroup_id_z 0
		.amdhsa_system_sgpr_workgroup_info 0
		.amdhsa_system_vgpr_workitem_id 0
		.amdhsa_next_free_vgpr 32
		.amdhsa_next_free_sgpr 16
		.amdhsa_accum_offset 32
		.amdhsa_reserve_vcc 1
		.amdhsa_float_round_mode_32 0
		.amdhsa_float_round_mode_16_64 0
		.amdhsa_float_denorm_mode_32 3
		.amdhsa_float_denorm_mode_16_64 3
		.amdhsa_dx10_clamp 1
		.amdhsa_ieee_mode 1
		.amdhsa_fp16_overflow 0
		.amdhsa_tg_split 0
		.amdhsa_exception_fp_ieee_invalid_op 0
		.amdhsa_exception_fp_denorm_src 0
		.amdhsa_exception_fp_ieee_div_zero 0
		.amdhsa_exception_fp_ieee_overflow 0
		.amdhsa_exception_fp_ieee_underflow 0
		.amdhsa_exception_fp_ieee_inexact 0
		.amdhsa_exception_int_div_zero 0
	.end_amdhsa_kernel
	.section	.text._Z30fast_hadamard_transform_kernelI37fast_hadamard_transform_kernel_traitsILi256ELi11E14__hip_bfloat16EEv18HadamardParamsBase,"axG",@progbits,_Z30fast_hadamard_transform_kernelI37fast_hadamard_transform_kernel_traitsILi256ELi11E14__hip_bfloat16EEv18HadamardParamsBase,comdat
.Lfunc_end34:
	.size	_Z30fast_hadamard_transform_kernelI37fast_hadamard_transform_kernel_traitsILi256ELi11E14__hip_bfloat16EEv18HadamardParamsBase, .Lfunc_end34-_Z30fast_hadamard_transform_kernelI37fast_hadamard_transform_kernel_traitsILi256ELi11E14__hip_bfloat16EEv18HadamardParamsBase
                                        ; -- End function
	.set _Z30fast_hadamard_transform_kernelI37fast_hadamard_transform_kernel_traitsILi256ELi11E14__hip_bfloat16EEv18HadamardParamsBase.num_vgpr, 32
	.set _Z30fast_hadamard_transform_kernelI37fast_hadamard_transform_kernel_traitsILi256ELi11E14__hip_bfloat16EEv18HadamardParamsBase.num_agpr, 0
	.set _Z30fast_hadamard_transform_kernelI37fast_hadamard_transform_kernel_traitsILi256ELi11E14__hip_bfloat16EEv18HadamardParamsBase.numbered_sgpr, 16
	.set _Z30fast_hadamard_transform_kernelI37fast_hadamard_transform_kernel_traitsILi256ELi11E14__hip_bfloat16EEv18HadamardParamsBase.num_named_barrier, 0
	.set _Z30fast_hadamard_transform_kernelI37fast_hadamard_transform_kernel_traitsILi256ELi11E14__hip_bfloat16EEv18HadamardParamsBase.private_seg_size, 0
	.set _Z30fast_hadamard_transform_kernelI37fast_hadamard_transform_kernel_traitsILi256ELi11E14__hip_bfloat16EEv18HadamardParamsBase.uses_vcc, 1
	.set _Z30fast_hadamard_transform_kernelI37fast_hadamard_transform_kernel_traitsILi256ELi11E14__hip_bfloat16EEv18HadamardParamsBase.uses_flat_scratch, 0
	.set _Z30fast_hadamard_transform_kernelI37fast_hadamard_transform_kernel_traitsILi256ELi11E14__hip_bfloat16EEv18HadamardParamsBase.has_dyn_sized_stack, 0
	.set _Z30fast_hadamard_transform_kernelI37fast_hadamard_transform_kernel_traitsILi256ELi11E14__hip_bfloat16EEv18HadamardParamsBase.has_recursion, 0
	.set _Z30fast_hadamard_transform_kernelI37fast_hadamard_transform_kernel_traitsILi256ELi11E14__hip_bfloat16EEv18HadamardParamsBase.has_indirect_call, 0
	.section	.AMDGPU.csdata,"",@progbits
; Kernel info:
; codeLenInByte = 2152
; TotalNumSgprs: 22
; NumVgprs: 32
; NumAgprs: 0
; TotalNumVgprs: 32
; ScratchSize: 0
; MemoryBound: 0
; FloatMode: 240
; IeeeMode: 1
; LDSByteSize: 0 bytes/workgroup (compile time only)
; SGPRBlocks: 2
; VGPRBlocks: 3
; NumSGPRsForWavesPerEU: 22
; NumVGPRsForWavesPerEU: 32
; AccumOffset: 32
; Occupancy: 8
; WaveLimiterHint : 0
; COMPUTE_PGM_RSRC2:SCRATCH_EN: 0
; COMPUTE_PGM_RSRC2:USER_SGPR: 2
; COMPUTE_PGM_RSRC2:TRAP_HANDLER: 0
; COMPUTE_PGM_RSRC2:TGID_X_EN: 1
; COMPUTE_PGM_RSRC2:TGID_Y_EN: 0
; COMPUTE_PGM_RSRC2:TGID_Z_EN: 0
; COMPUTE_PGM_RSRC2:TIDIG_COMP_CNT: 0
; COMPUTE_PGM_RSRC3_GFX90A:ACCUM_OFFSET: 7
; COMPUTE_PGM_RSRC3_GFX90A:TG_SPLIT: 0
	.section	.text._Z30fast_hadamard_transform_kernelI37fast_hadamard_transform_kernel_traitsILi256ELi12E14__hip_bfloat16EEv18HadamardParamsBase,"axG",@progbits,_Z30fast_hadamard_transform_kernelI37fast_hadamard_transform_kernel_traitsILi256ELi12E14__hip_bfloat16EEv18HadamardParamsBase,comdat
	.protected	_Z30fast_hadamard_transform_kernelI37fast_hadamard_transform_kernel_traitsILi256ELi12E14__hip_bfloat16EEv18HadamardParamsBase ; -- Begin function _Z30fast_hadamard_transform_kernelI37fast_hadamard_transform_kernel_traitsILi256ELi12E14__hip_bfloat16EEv18HadamardParamsBase
	.globl	_Z30fast_hadamard_transform_kernelI37fast_hadamard_transform_kernel_traitsILi256ELi12E14__hip_bfloat16EEv18HadamardParamsBase
	.p2align	8
	.type	_Z30fast_hadamard_transform_kernelI37fast_hadamard_transform_kernel_traitsILi256ELi12E14__hip_bfloat16EEv18HadamardParamsBase,@function
_Z30fast_hadamard_transform_kernelI37fast_hadamard_transform_kernel_traitsILi256ELi12E14__hip_bfloat16EEv18HadamardParamsBase: ; @_Z30fast_hadamard_transform_kernelI37fast_hadamard_transform_kernel_traitsILi256ELi12E14__hip_bfloat16EEv18HadamardParamsBase
; %bb.0:
	s_load_dwordx4 s[20:23], s[0:1], 0x10
	s_load_dword s8, s[0:1], 0x4
	s_load_dwordx4 s[16:19], s[0:1], 0x28
	s_ashr_i32 s3, s2, 31
	s_load_dword s9, s[0:1], 0x44
	s_waitcnt lgkmcnt(0)
	s_mul_hi_u32 s4, s20, s2
	s_mul_i32 s5, s20, s3
	s_add_i32 s4, s4, s5
	s_mul_i32 s5, s21, s2
	s_add_i32 s5, s4, s5
	s_mul_i32 s4, s20, s2
	s_lshl_b64 s[4:5], s[4:5], 1
	s_add_u32 s4, s16, s4
	v_lshlrev_b32_e32 v1, 3, v0
	s_addc_u32 s5, s17, s5
	v_cmp_gt_u32_e32 vcc, s8, v1
	v_mov_b32_e32 v2, 0
	v_lshlrev_b32_e32 v18, 4, v0
	v_mov_b32_e32 v4, 0
	v_mov_b32_e32 v5, 0
	;; [unrolled: 1-line block ×8, first 2 shown]
	s_and_saveexec_b64 s[6:7], vcc
	s_cbranch_execz .LBB35_2
; %bb.1:
	global_load_dwordx4 v[12:15], v18, s[4:5]
	s_waitcnt vmcnt(0)
	v_lshlrev_b32_e32 v8, 16, v13
	v_and_b32_e32 v9, 0xffff0000, v12
	v_and_b32_e32 v10, 0xffff0000, v13
	v_lshlrev_b32_e32 v11, 16, v12
	v_lshlrev_b32_e32 v4, 16, v15
	v_and_b32_e32 v5, 0xffff0000, v14
	v_and_b32_e32 v6, 0xffff0000, v15
	v_lshlrev_b32_e32 v7, 16, v14
.LBB35_2:
	s_or_b64 exec, exec, s[6:7]
	s_load_dword s16, s[0:1], 0x20
	s_and_b32 s0, 0xffff, s9
	v_add_u32_e32 v1, s0, v0
	v_lshlrev_b32_e32 v3, 3, v1
	v_cmp_gt_u32_e64 s[0:1], s8, v3
	v_lshlrev_b32_e32 v19, 4, v1
	v_mov_b32_e32 v14, 0
	v_mov_b32_e32 v12, 0
	;; [unrolled: 1-line block ×7, first 2 shown]
	s_and_saveexec_b64 s[6:7], s[0:1]
	s_cbranch_execz .LBB35_4
; %bb.3:
	global_load_dwordx4 v[20:23], v19, s[4:5]
	s_waitcnt vmcnt(0)
	v_lshlrev_b32_e32 v13, 16, v20
	v_and_b32_e32 v17, 0xffff0000, v20
	v_lshlrev_b32_e32 v3, 16, v21
	v_and_b32_e32 v15, 0xffff0000, v21
	;; [unrolled: 2-line block ×4, first 2 shown]
.LBB35_4:
	s_or_b64 exec, exec, s[6:7]
	v_pk_add_f32 v[20:21], v[8:9], v[10:11] neg_lo:[0,1] neg_hi:[0,1]
	v_pk_add_f32 v[22:23], v[8:9], v[10:11]
	v_pk_add_f32 v[8:9], v[10:11], v[8:9] neg_lo:[0,1] neg_hi:[0,1]
	v_pk_add_f32 v[24:25], v[4:5], v[6:7] neg_lo:[0,1] neg_hi:[0,1]
	v_pk_add_f32 v[26:27], v[4:5], v[6:7]
	v_pk_add_f32 v[4:5], v[6:7], v[4:5] neg_lo:[0,1] neg_hi:[0,1]
	v_pk_mov_b32 v[10:11], v[8:9], v[22:23] op_sel:[1,0]
	v_pk_mov_b32 v[6:7], v[4:5], v[26:27] op_sel:[1,0]
	v_mov_b32_e32 v8, v5
	v_mov_b32_e32 v4, v24
	;; [unrolled: 1-line block ×3, first 2 shown]
	v_mbcnt_lo_u32_b32 v1, -1, 0
	v_mov_b32_e32 v28, v26
	v_mov_b32_e32 v29, v22
	;; [unrolled: 1-line block ×4, first 2 shown]
	v_pk_add_f32 v[32:33], v[14:15], v[2:3]
	v_pk_add_f32 v[4:5], v[8:9], v[4:5] neg_lo:[0,1] neg_hi:[0,1]
	v_pk_add_f32 v[8:9], v[12:13], v[16:17] neg_lo:[0,1] neg_hi:[0,1]
	;; [unrolled: 1-line block ×3, first 2 shown]
	v_mbcnt_hi_u32_b32 v42, -1, v1
	v_pk_add_f32 v[28:29], v[28:29], v[30:31]
	v_pk_add_f32 v[30:31], v[16:17], v[12:13]
	v_pk_add_f32 v[12:13], v[2:3], v[8:9]
	v_pk_add_f32 v[2:3], v[8:9], v[2:3] neg_lo:[0,1] neg_hi:[0,1]
	v_and_b32_e32 v1, 64, v42
	v_add_f32_e32 v17, v2, v3
	v_sub_f32_e32 v41, v3, v2
	v_add_u32_e32 v43, 64, v1
	v_and_b32_e32 v2, 1, v0
	v_xor_b32_e32 v1, 1, v42
	v_cmp_lt_i32_e64 s[4:5], v1, v43
	v_cmp_eq_u32_e64 s[14:15], 0, v2
	v_pk_add_f32 v[2:3], v[20:21], v[10:11]
	v_xor_b32_e32 v20, 2, v42
	v_add_f32_e32 v15, v12, v13
	v_sub_f32_e32 v39, v13, v12
	v_add_f32_e32 v12, v4, v5
	v_sub_f32_e32 v13, v5, v4
	v_cndmask_b32_e64 v1, v42, v1, s[4:5]
	v_pk_add_f32 v[4:5], v[22:23], v[10:11] neg_lo:[0,1] neg_hi:[0,1]
	v_cmp_lt_i32_e64 s[4:5], v20, v43
	v_mov_b32_e32 v3, v5
	v_pk_add_f32 v[4:5], v[24:25], v[6:7]
	v_pk_add_f32 v[6:7], v[26:27], v[6:7] neg_lo:[0,1] neg_hi:[0,1]
	v_cndmask_b32_e64 v20, v42, v20, s[4:5]
	v_mov_b32_e32 v5, v7
	v_lshlrev_b32_e32 v21, 2, v20
	v_xor_b32_e32 v20, 4, v42
	v_pk_add_f32 v[34:35], v[32:33], v[30:31]
	v_pk_add_f32 v[30:31], v[30:31], v[32:33] neg_lo:[0,1] neg_hi:[0,1]
	v_add_f32_e32 v8, v28, v29
	v_lshlrev_b32_e32 v1, 2, v1
	v_pk_add_f32 v[6:7], v[2:3], v[4:5] neg_lo:[0,1] neg_hi:[0,1]
	v_pk_add_f32 v[2:3], v[4:5], v[2:3]
	v_cmp_lt_i32_e64 s[4:5], v20, v43
	v_sub_f32_e32 v9, v29, v28
	v_sub_f32_e32 v40, v31, v30
	ds_bpermute_b32 v28, v1, v8
	ds_bpermute_b32 v29, v1, v2
	;; [unrolled: 1-line block ×4, first 2 shown]
	v_cndmask_b32_e64 v20, v42, v20, s[4:5]
	v_add_f32_e32 v16, v30, v31
	v_cndmask_b32_e64 v30, -v8, v8, s[14:15]
	ds_bpermute_b32 v27, v1, v6
	v_cndmask_b32_e64 v33, -v6, v6, s[14:15]
	ds_bpermute_b32 v6, v1, v40
	v_cndmask_b32_e64 v8, -v40, v40, s[14:15]
	v_lshlrev_b32_e32 v40, 2, v20
	v_xor_b32_e32 v20, 8, v42
	v_cmp_lt_i32_e64 s[4:5], v20, v43
	v_cndmask_b32_e64 v31, -v2, v2, s[14:15]
	v_cndmask_b32_e64 v24, -v3, v3, s[14:15]
	v_cndmask_b32_e64 v20, v42, v20, s[4:5]
	v_cndmask_b32_e64 v25, -v12, v12, s[14:15]
	v_lshlrev_b32_e32 v44, 2, v20
	v_xor_b32_e32 v20, 16, v42
	v_cmp_lt_i32_e64 s[4:5], v20, v43
	s_waitcnt lgkmcnt(0)
	v_pk_add_f32 v[22:23], v[24:25], v[22:23]
	v_pk_add_f32 v[24:25], v[30:31], v[28:29]
	v_cndmask_b32_e64 v20, v42, v20, s[4:5]
	ds_bpermute_b32 v28, v21, v24
	ds_bpermute_b32 v29, v21, v25
	;; [unrolled: 1-line block ×4, first 2 shown]
	v_sub_f32_e32 v38, v35, v34
	v_lshlrev_b32_e32 v46, 2, v20
	v_xor_b32_e32 v20, 32, v42
	ds_bpermute_b32 v2, v1, v38
	v_cndmask_b32_e64 v4, -v38, v38, s[14:15]
	v_and_b32_e32 v38, 2, v0
	v_cmp_lt_i32_e64 s[4:5], v20, v43
	ds_bpermute_b32 v3, v1, v39
	v_cndmask_b32_e64 v5, -v39, v39, s[14:15]
	v_cndmask_b32_e64 v20, v42, v20, s[4:5]
	v_cmp_eq_u32_e64 s[4:5], 0, v38
	v_and_b32_e32 v39, 4, v0
	v_cmp_eq_u32_e64 s[6:7], 0, v39
	v_cndmask_b32_e64 v25, -v25, v25, s[4:5]
	v_cndmask_b32_e64 v24, -v24, v24, s[4:5]
	;; [unrolled: 1-line block ×4, first 2 shown]
	s_waitcnt lgkmcnt(2)
	v_pk_add_f32 v[22:23], v[22:23], v[30:31]
	v_pk_add_f32 v[24:25], v[24:25], v[28:29]
	ds_bpermute_b32 v28, v40, v24
	ds_bpermute_b32 v29, v40, v25
	;; [unrolled: 1-line block ×4, first 2 shown]
	v_cndmask_b32_e64 v25, -v25, v25, s[6:7]
	v_cndmask_b32_e64 v24, -v24, v24, s[6:7]
	;; [unrolled: 1-line block ×4, first 2 shown]
	s_waitcnt lgkmcnt(0)
	v_pk_add_f32 v[22:23], v[22:23], v[30:31]
	v_pk_add_f32 v[24:25], v[24:25], v[28:29]
	ds_bpermute_b32 v28, v44, v24
	ds_bpermute_b32 v29, v44, v25
	;; [unrolled: 1-line block ×4, first 2 shown]
	v_add_f32_e32 v14, v34, v35
	ds_bpermute_b32 v26, v1, v9
	v_cndmask_b32_e64 v32, -v9, v9, s[14:15]
	ds_bpermute_b32 v34, v1, v7
	v_cndmask_b32_e64 v36, -v7, v7, s[14:15]
	;; [unrolled: 2-line block ×3, first 2 shown]
	v_and_b32_e32 v41, 8, v0
	v_cmp_eq_u32_e64 s[8:9], 0, v41
	v_and_b32_e32 v45, 16, v0
	v_cmp_eq_u32_e64 s[10:11], 0, v45
	v_cndmask_b32_e64 v25, -v25, v25, s[8:9]
	v_cndmask_b32_e64 v24, -v24, v24, s[8:9]
	;; [unrolled: 1-line block ×4, first 2 shown]
	s_waitcnt lgkmcnt(3)
	v_pk_add_f32 v[22:23], v[22:23], v[30:31]
	v_pk_add_f32 v[24:25], v[24:25], v[28:29]
	ds_bpermute_b32 v28, v46, v24
	ds_bpermute_b32 v29, v46, v25
	;; [unrolled: 1-line block ×4, first 2 shown]
	v_cndmask_b32_e64 v25, -v25, v25, s[10:11]
	v_cndmask_b32_e64 v24, -v24, v24, s[10:11]
	;; [unrolled: 1-line block ×4, first 2 shown]
	v_lshlrev_b32_e32 v42, 2, v20
	s_waitcnt lgkmcnt(0)
	v_pk_add_f32 v[22:23], v[22:23], v[30:31]
	v_pk_add_f32 v[24:25], v[24:25], v[28:29]
	ds_bpermute_b32 v28, v42, v24
	ds_bpermute_b32 v29, v42, v25
	;; [unrolled: 1-line block ×5, first 2 shown]
	v_cndmask_b32_e64 v37, -v13, v13, s[14:15]
	ds_bpermute_b32 v10, v1, v14
	v_cndmask_b32_e64 v12, -v14, v14, s[14:15]
	ds_bpermute_b32 v11, v1, v15
	;; [unrolled: 2-line block ×3, first 2 shown]
	ds_bpermute_b32 v15, v1, v17
	v_and_b32_e32 v47, 32, v0
	v_lshrrev_b32_e32 v20, 6, v0
	v_cmp_eq_u32_e64 s[12:13], 0, v47
	v_and_b32_e32 v43, 3, v0
	v_lshrrev_b32_e32 v48, 2, v0
	v_xor_b32_e32 v0, v20, v0
	v_cndmask_b32_e64 v39, -v25, v25, s[12:13]
	v_cndmask_b32_e64 v38, -v24, v24, s[12:13]
	;; [unrolled: 1-line block ×6, first 2 shown]
	v_lshl_add_u32 v20, v0, 4, 0
	s_waitcnt lgkmcnt(5)
	v_pk_add_f32 v[24:25], v[22:23], v[30:31]
	v_pk_add_f32 v[22:23], v[38:39], v[28:29]
	s_waitcnt lgkmcnt(0)
	s_barrier
	ds_write_b128 v20, v[22:25]
	v_pk_add_f32 v[22:23], v[36:37], v[34:35]
	v_pk_add_f32 v[24:25], v[32:33], v[26:27]
	;; [unrolled: 1-line block ×6, first 2 shown]
	ds_bpermute_b32 v26, v21, v24
	ds_bpermute_b32 v27, v21, v25
	ds_bpermute_b32 v28, v21, v22
	ds_bpermute_b32 v29, v21, v23
	ds_bpermute_b32 v12, v21, v10
	ds_bpermute_b32 v13, v21, v11
	ds_bpermute_b32 v16, v21, v14
	ds_bpermute_b32 v17, v21, v15
	ds_bpermute_b32 v4, v21, v2
	ds_bpermute_b32 v5, v21, v3
	ds_bpermute_b32 v8, v21, v6
	ds_bpermute_b32 v9, v21, v7
	v_cndmask_b32_e64 v25, -v25, v25, s[4:5]
	v_cndmask_b32_e64 v24, -v24, v24, s[4:5]
	v_cndmask_b32_e64 v23, -v23, v23, s[4:5]
	v_cndmask_b32_e64 v22, -v22, v22, s[4:5]
	v_cndmask_b32_e64 v11, -v11, v11, s[4:5]
	v_cndmask_b32_e64 v10, -v10, v10, s[4:5]
	v_cndmask_b32_e64 v15, -v15, v15, s[4:5]
	v_cndmask_b32_e64 v14, -v14, v14, s[4:5]
	v_cndmask_b32_e64 v3, -v3, v3, s[4:5]
	v_cndmask_b32_e64 v2, -v2, v2, s[4:5]
	v_cndmask_b32_e64 v7, -v7, v7, s[4:5]
	v_cndmask_b32_e64 v6, -v6, v6, s[4:5]
	s_waitcnt lgkmcnt(8)
	v_pk_add_f32 v[22:23], v[22:23], v[28:29]
	v_pk_add_f32 v[24:25], v[24:25], v[26:27]
	s_waitcnt lgkmcnt(4)
	v_pk_add_f32 v[14:15], v[14:15], v[16:17]
	v_pk_add_f32 v[10:11], v[10:11], v[12:13]
	s_waitcnt lgkmcnt(0)
	v_pk_add_f32 v[6:7], v[6:7], v[8:9]
	v_pk_add_f32 v[2:3], v[2:3], v[4:5]
	ds_bpermute_b32 v26, v40, v24
	ds_bpermute_b32 v27, v40, v25
	ds_bpermute_b32 v28, v40, v22
	ds_bpermute_b32 v29, v40, v23
	ds_bpermute_b32 v12, v40, v10
	ds_bpermute_b32 v13, v40, v11
	ds_bpermute_b32 v16, v40, v14
	ds_bpermute_b32 v17, v40, v15
	ds_bpermute_b32 v4, v40, v2
	ds_bpermute_b32 v5, v40, v3
	ds_bpermute_b32 v8, v40, v6
	ds_bpermute_b32 v9, v40, v7
	v_cndmask_b32_e64 v25, -v25, v25, s[6:7]
	v_cndmask_b32_e64 v24, -v24, v24, s[6:7]
	v_cndmask_b32_e64 v23, -v23, v23, s[6:7]
	v_cndmask_b32_e64 v22, -v22, v22, s[6:7]
	v_cndmask_b32_e64 v11, -v11, v11, s[6:7]
	v_cndmask_b32_e64 v10, -v10, v10, s[6:7]
	v_cndmask_b32_e64 v15, -v15, v15, s[6:7]
	v_cndmask_b32_e64 v14, -v14, v14, s[6:7]
	v_cndmask_b32_e64 v3, -v3, v3, s[6:7]
	v_cndmask_b32_e64 v2, -v2, v2, s[6:7]
	v_cndmask_b32_e64 v7, -v7, v7, s[6:7]
	v_cndmask_b32_e64 v6, -v6, v6, s[6:7]
	s_waitcnt lgkmcnt(8)
	v_pk_add_f32 v[22:23], v[22:23], v[28:29]
	v_pk_add_f32 v[24:25], v[24:25], v[26:27]
	s_waitcnt lgkmcnt(4)
	v_pk_add_f32 v[14:15], v[14:15], v[16:17]
	v_pk_add_f32 v[10:11], v[10:11], v[12:13]
	s_waitcnt lgkmcnt(0)
	v_pk_add_f32 v[6:7], v[6:7], v[8:9]
	v_pk_add_f32 v[2:3], v[2:3], v[4:5]
	;; [unrolled: 33-line block ×4, first 2 shown]
	ds_bpermute_b32 v26, v42, v24
	ds_bpermute_b32 v27, v42, v25
	;; [unrolled: 1-line block ×12, first 2 shown]
	v_lshlrev_b32_e32 v0, 6, v43
	v_bitop3_b32 v0, v0, v43, v48 bitop3:0x36
	v_cndmask_b32_e64 v31, -v25, v25, s[12:13]
	v_cndmask_b32_e64 v30, -v24, v24, s[12:13]
	;; [unrolled: 1-line block ×12, first 2 shown]
	s_waitcnt lgkmcnt(8)
	v_pk_add_f32 v[24:25], v[22:23], v[28:29]
	v_pk_add_f32 v[22:23], v[30:31], v[26:27]
	s_waitcnt lgkmcnt(4)
	v_pk_add_f32 v[12:13], v[14:15], v[12:13]
	v_pk_add_f32 v[10:11], v[10:11], v[16:17]
	;; [unrolled: 3-line block ×3, first 2 shown]
	v_lshl_add_u32 v26, v0, 4, 0
	ds_write_b128 v20, v[22:25] offset:4096
	ds_write_b128 v20, v[10:13] offset:8192
	ds_write_b128 v20, v[2:5] offset:12288
	s_waitcnt lgkmcnt(0)
	s_barrier
	ds_read_b128 v[2:5], v26
	ds_read_b128 v[6:9], v26 offset:4096
	s_mul_i32 s3, s22, s3
	s_mov_b32 s17, s16
	s_waitcnt lgkmcnt(1)
	ds_bpermute_b32 v10, v1, v2
	ds_bpermute_b32 v11, v1, v3
	ds_bpermute_b32 v12, v1, v4
	ds_bpermute_b32 v13, v1, v5
	v_cndmask_b32_e64 v3, -v3, v3, s[14:15]
	v_cndmask_b32_e64 v2, -v2, v2, s[14:15]
	v_cndmask_b32_e64 v5, -v5, v5, s[14:15]
	v_cndmask_b32_e64 v4, -v4, v4, s[14:15]
	s_waitcnt lgkmcnt(0)
	v_pk_add_f32 v[4:5], v[4:5], v[12:13]
	v_pk_add_f32 v[2:3], v[2:3], v[10:11]
	ds_bpermute_b32 v10, v21, v2
	ds_bpermute_b32 v11, v21, v3
	ds_bpermute_b32 v12, v21, v4
	ds_bpermute_b32 v13, v21, v5
	v_cndmask_b32_e64 v3, -v3, v3, s[4:5]
	v_cndmask_b32_e64 v2, -v2, v2, s[4:5]
	v_cndmask_b32_e64 v5, -v5, v5, s[4:5]
	v_cndmask_b32_e64 v4, -v4, v4, s[4:5]
	s_waitcnt lgkmcnt(0)
	v_pk_add_f32 v[4:5], v[4:5], v[12:13]
	v_pk_add_f32 v[2:3], v[2:3], v[10:11]
	;; [unrolled: 11-line block ×3, first 2 shown]
	ds_bpermute_b32 v10, v21, v6
	ds_bpermute_b32 v11, v21, v7
	;; [unrolled: 1-line block ×4, first 2 shown]
	v_cndmask_b32_e64 v17, -v7, v7, s[4:5]
	v_cndmask_b32_e64 v16, -v6, v6, s[4:5]
	ds_read_b128 v[6:9], v26 offset:8192
	v_cndmask_b32_e64 v13, -v13, v13, s[4:5]
	v_cndmask_b32_e64 v12, -v12, v12, s[4:5]
	s_waitcnt lgkmcnt(1)
	v_pk_add_f32 v[12:13], v[12:13], v[14:15]
	v_pk_add_f32 v[10:11], v[16:17], v[10:11]
	ds_read_b128 v[14:17], v26 offset:12288
	s_waitcnt lgkmcnt(1)
	ds_bpermute_b32 v22, v1, v6
	ds_bpermute_b32 v23, v1, v7
	v_cndmask_b32_e64 v7, -v7, v7, s[14:15]
	v_cndmask_b32_e64 v6, -v6, v6, s[14:15]
	ds_bpermute_b32 v24, v1, v8
	ds_bpermute_b32 v25, v1, v9
	s_waitcnt lgkmcnt(2)
	v_pk_add_f32 v[6:7], v[6:7], v[22:23]
	ds_bpermute_b32 v22, v21, v6
	ds_bpermute_b32 v23, v21, v7
	v_cndmask_b32_e64 v7, -v7, v7, s[4:5]
	v_cndmask_b32_e64 v6, -v6, v6, s[4:5]
	ds_bpermute_b32 v0, v1, v16
	v_cndmask_b32_e64 v9, -v9, v9, s[14:15]
	s_waitcnt lgkmcnt(1)
	v_pk_add_f32 v[6:7], v[6:7], v[22:23]
	ds_bpermute_b32 v22, v1, v14
	ds_bpermute_b32 v23, v1, v15
	;; [unrolled: 1-line block ×3, first 2 shown]
	v_cndmask_b32_e64 v8, -v8, v8, s[14:15]
	v_cndmask_b32_e64 v15, -v15, v15, s[14:15]
	;; [unrolled: 1-line block ×3, first 2 shown]
	v_pk_add_f32 v[8:9], v[8:9], v[24:25]
	v_cndmask_b32_e64 v17, -v17, v17, s[14:15]
	v_cndmask_b32_e64 v16, -v16, v16, s[14:15]
	s_waitcnt lgkmcnt(1)
	v_pk_add_f32 v[14:15], v[14:15], v[22:23]
	ds_bpermute_b32 v24, v21, v8
	ds_bpermute_b32 v25, v21, v9
	s_waitcnt lgkmcnt(2)
	v_pk_add_f32 v[0:1], v[16:17], v[0:1]
	ds_bpermute_b32 v22, v21, v14
	ds_bpermute_b32 v23, v21, v15
	;; [unrolled: 1-line block ×4, first 2 shown]
	v_cndmask_b32_e64 v9, -v9, v9, s[4:5]
	v_cndmask_b32_e64 v8, -v8, v8, s[4:5]
	;; [unrolled: 1-line block ×4, first 2 shown]
	s_waitcnt lgkmcnt(4)
	v_pk_add_f32 v[8:9], v[8:9], v[24:25]
	v_cndmask_b32_e64 v1, -v1, v1, s[4:5]
	v_cndmask_b32_e64 v0, -v0, v0, s[4:5]
	s_waitcnt lgkmcnt(2)
	v_pk_add_f32 v[14:15], v[14:15], v[22:23]
	s_waitcnt lgkmcnt(0)
	v_pk_add_f32 v[16:17], v[0:1], v[16:17]
	s_barrier
	ds_write_b128 v26, v[2:5]
	ds_write_b128 v26, v[10:13] offset:4096
	ds_write_b128 v26, v[6:9] offset:8192
	;; [unrolled: 1-line block ×3, first 2 shown]
	s_waitcnt lgkmcnt(0)
	s_barrier
	ds_read_b128 v[8:11], v20
	ds_read_b128 v[0:3], v20 offset:4096
	ds_read_b128 v[12:15], v20 offset:8192
	;; [unrolled: 1-line block ×3, first 2 shown]
	s_mul_hi_u32 s4, s22, s2
	s_add_i32 s3, s4, s3
	s_mul_i32 s4, s23, s2
	s_add_i32 s3, s3, s4
	s_mul_i32 s2, s22, s2
	s_lshl_b64 s[2:3], s[2:3], 1
	s_add_u32 s2, s18, s2
	s_addc_u32 s3, s19, s3
	s_and_saveexec_b64 s[4:5], vcc
	s_cbranch_execnz .LBB35_7
; %bb.5:
	s_or_b64 exec, exec, s[4:5]
	s_and_saveexec_b64 s[4:5], s[0:1]
	s_cbranch_execnz .LBB35_8
.LBB35_6:
	s_endpgm
.LBB35_7:
	s_waitcnt lgkmcnt(1)
	v_pk_add_f32 v[20:21], v[8:9], v[12:13]
	v_pk_add_f32 v[16:17], v[10:11], v[14:15]
	s_mov_b32 s6, s16
	s_mov_b32 s7, s16
	v_pk_mul_f32 v[24:25], s[16:17], v[20:21]
	s_waitcnt lgkmcnt(0)
	v_pk_add_f32 v[20:21], v[2:3], v[6:7]
	v_pk_add_f32 v[22:23], v[0:1], v[4:5]
	v_pk_mul_f32 v[16:17], s[6:7], v[16:17]
	v_pk_mul_f32 v[20:21], s[6:7], v[20:21]
	;; [unrolled: 1-line block ×3, first 2 shown]
	v_cvt_pk_bf16_f32 v23, v20, v21
	v_cvt_pk_bf16_f32 v21, v16, v17
	;; [unrolled: 1-line block ×4, first 2 shown]
	global_store_dwordx4 v18, v[20:23], s[2:3]
	s_or_b64 exec, exec, s[4:5]
	s_and_saveexec_b64 s[4:5], s[0:1]
	s_cbranch_execz .LBB35_6
.LBB35_8:
	s_waitcnt lgkmcnt(1)
	v_sub_f32_e32 v9, v9, v13
	v_sub_f32_e32 v8, v8, v12
	;; [unrolled: 1-line block ×4, first 2 shown]
	s_mov_b32 s0, s16
	s_mov_b32 s1, s16
	s_waitcnt lgkmcnt(0)
	v_sub_f32_e32 v1, v1, v5
	v_sub_f32_e32 v0, v0, v4
	;; [unrolled: 1-line block ×4, first 2 shown]
	v_pk_mul_f32 v[10:11], s[0:1], v[10:11]
	v_pk_mul_f32 v[8:9], s[16:17], v[8:9]
	;; [unrolled: 1-line block ×4, first 2 shown]
	v_cvt_pk_bf16_f32 v3, v2, v3
	v_cvt_pk_bf16_f32 v2, v0, v1
	;; [unrolled: 1-line block ×4, first 2 shown]
	global_store_dwordx4 v19, v[0:3], s[2:3]
	s_endpgm
	.section	.rodata,"a",@progbits
	.p2align	6, 0x0
	.amdhsa_kernel _Z30fast_hadamard_transform_kernelI37fast_hadamard_transform_kernel_traitsILi256ELi12E14__hip_bfloat16EEv18HadamardParamsBase
		.amdhsa_group_segment_fixed_size 0
		.amdhsa_private_segment_fixed_size 0
		.amdhsa_kernarg_size 312
		.amdhsa_user_sgpr_count 2
		.amdhsa_user_sgpr_dispatch_ptr 0
		.amdhsa_user_sgpr_queue_ptr 0
		.amdhsa_user_sgpr_kernarg_segment_ptr 1
		.amdhsa_user_sgpr_dispatch_id 0
		.amdhsa_user_sgpr_kernarg_preload_length 0
		.amdhsa_user_sgpr_kernarg_preload_offset 0
		.amdhsa_user_sgpr_private_segment_size 0
		.amdhsa_uses_dynamic_stack 0
		.amdhsa_enable_private_segment 0
		.amdhsa_system_sgpr_workgroup_id_x 1
		.amdhsa_system_sgpr_workgroup_id_y 0
		.amdhsa_system_sgpr_workgroup_id_z 0
		.amdhsa_system_sgpr_workgroup_info 0
		.amdhsa_system_vgpr_workitem_id 0
		.amdhsa_next_free_vgpr 49
		.amdhsa_next_free_sgpr 24
		.amdhsa_accum_offset 52
		.amdhsa_reserve_vcc 1
		.amdhsa_float_round_mode_32 0
		.amdhsa_float_round_mode_16_64 0
		.amdhsa_float_denorm_mode_32 3
		.amdhsa_float_denorm_mode_16_64 3
		.amdhsa_dx10_clamp 1
		.amdhsa_ieee_mode 1
		.amdhsa_fp16_overflow 0
		.amdhsa_tg_split 0
		.amdhsa_exception_fp_ieee_invalid_op 0
		.amdhsa_exception_fp_denorm_src 0
		.amdhsa_exception_fp_ieee_div_zero 0
		.amdhsa_exception_fp_ieee_overflow 0
		.amdhsa_exception_fp_ieee_underflow 0
		.amdhsa_exception_fp_ieee_inexact 0
		.amdhsa_exception_int_div_zero 0
	.end_amdhsa_kernel
	.section	.text._Z30fast_hadamard_transform_kernelI37fast_hadamard_transform_kernel_traitsILi256ELi12E14__hip_bfloat16EEv18HadamardParamsBase,"axG",@progbits,_Z30fast_hadamard_transform_kernelI37fast_hadamard_transform_kernel_traitsILi256ELi12E14__hip_bfloat16EEv18HadamardParamsBase,comdat
.Lfunc_end35:
	.size	_Z30fast_hadamard_transform_kernelI37fast_hadamard_transform_kernel_traitsILi256ELi12E14__hip_bfloat16EEv18HadamardParamsBase, .Lfunc_end35-_Z30fast_hadamard_transform_kernelI37fast_hadamard_transform_kernel_traitsILi256ELi12E14__hip_bfloat16EEv18HadamardParamsBase
                                        ; -- End function
	.set _Z30fast_hadamard_transform_kernelI37fast_hadamard_transform_kernel_traitsILi256ELi12E14__hip_bfloat16EEv18HadamardParamsBase.num_vgpr, 49
	.set _Z30fast_hadamard_transform_kernelI37fast_hadamard_transform_kernel_traitsILi256ELi12E14__hip_bfloat16EEv18HadamardParamsBase.num_agpr, 0
	.set _Z30fast_hadamard_transform_kernelI37fast_hadamard_transform_kernel_traitsILi256ELi12E14__hip_bfloat16EEv18HadamardParamsBase.numbered_sgpr, 24
	.set _Z30fast_hadamard_transform_kernelI37fast_hadamard_transform_kernel_traitsILi256ELi12E14__hip_bfloat16EEv18HadamardParamsBase.num_named_barrier, 0
	.set _Z30fast_hadamard_transform_kernelI37fast_hadamard_transform_kernel_traitsILi256ELi12E14__hip_bfloat16EEv18HadamardParamsBase.private_seg_size, 0
	.set _Z30fast_hadamard_transform_kernelI37fast_hadamard_transform_kernel_traitsILi256ELi12E14__hip_bfloat16EEv18HadamardParamsBase.uses_vcc, 1
	.set _Z30fast_hadamard_transform_kernelI37fast_hadamard_transform_kernel_traitsILi256ELi12E14__hip_bfloat16EEv18HadamardParamsBase.uses_flat_scratch, 0
	.set _Z30fast_hadamard_transform_kernelI37fast_hadamard_transform_kernel_traitsILi256ELi12E14__hip_bfloat16EEv18HadamardParamsBase.has_dyn_sized_stack, 0
	.set _Z30fast_hadamard_transform_kernelI37fast_hadamard_transform_kernel_traitsILi256ELi12E14__hip_bfloat16EEv18HadamardParamsBase.has_recursion, 0
	.set _Z30fast_hadamard_transform_kernelI37fast_hadamard_transform_kernel_traitsILi256ELi12E14__hip_bfloat16EEv18HadamardParamsBase.has_indirect_call, 0
	.section	.AMDGPU.csdata,"",@progbits
; Kernel info:
; codeLenInByte = 4064
; TotalNumSgprs: 30
; NumVgprs: 49
; NumAgprs: 0
; TotalNumVgprs: 49
; ScratchSize: 0
; MemoryBound: 0
; FloatMode: 240
; IeeeMode: 1
; LDSByteSize: 0 bytes/workgroup (compile time only)
; SGPRBlocks: 3
; VGPRBlocks: 6
; NumSGPRsForWavesPerEU: 30
; NumVGPRsForWavesPerEU: 49
; AccumOffset: 52
; Occupancy: 8
; WaveLimiterHint : 0
; COMPUTE_PGM_RSRC2:SCRATCH_EN: 0
; COMPUTE_PGM_RSRC2:USER_SGPR: 2
; COMPUTE_PGM_RSRC2:TRAP_HANDLER: 0
; COMPUTE_PGM_RSRC2:TGID_X_EN: 1
; COMPUTE_PGM_RSRC2:TGID_Y_EN: 0
; COMPUTE_PGM_RSRC2:TGID_Z_EN: 0
; COMPUTE_PGM_RSRC2:TIDIG_COMP_CNT: 0
; COMPUTE_PGM_RSRC3_GFX90A:ACCUM_OFFSET: 12
; COMPUTE_PGM_RSRC3_GFX90A:TG_SPLIT: 0
	.section	.text._Z30fast_hadamard_transform_kernelI37fast_hadamard_transform_kernel_traitsILi256ELi13E14__hip_bfloat16EEv18HadamardParamsBase,"axG",@progbits,_Z30fast_hadamard_transform_kernelI37fast_hadamard_transform_kernel_traitsILi256ELi13E14__hip_bfloat16EEv18HadamardParamsBase,comdat
	.protected	_Z30fast_hadamard_transform_kernelI37fast_hadamard_transform_kernel_traitsILi256ELi13E14__hip_bfloat16EEv18HadamardParamsBase ; -- Begin function _Z30fast_hadamard_transform_kernelI37fast_hadamard_transform_kernel_traitsILi256ELi13E14__hip_bfloat16EEv18HadamardParamsBase
	.globl	_Z30fast_hadamard_transform_kernelI37fast_hadamard_transform_kernel_traitsILi256ELi13E14__hip_bfloat16EEv18HadamardParamsBase
	.p2align	8
	.type	_Z30fast_hadamard_transform_kernelI37fast_hadamard_transform_kernel_traitsILi256ELi13E14__hip_bfloat16EEv18HadamardParamsBase,@function
_Z30fast_hadamard_transform_kernelI37fast_hadamard_transform_kernel_traitsILi256ELi13E14__hip_bfloat16EEv18HadamardParamsBase: ; @_Z30fast_hadamard_transform_kernelI37fast_hadamard_transform_kernel_traitsILi256ELi13E14__hip_bfloat16EEv18HadamardParamsBase
; %bb.0:
	s_load_dwordx4 s[24:27], s[0:1], 0x10
	s_load_dword s8, s[0:1], 0x4
	s_load_dwordx4 s[20:23], s[0:1], 0x28
	s_ashr_i32 s3, s2, 31
	s_load_dword s9, s[0:1], 0x44
	s_waitcnt lgkmcnt(0)
	s_mul_hi_u32 s4, s24, s2
	s_mul_i32 s5, s24, s3
	s_add_i32 s4, s4, s5
	s_mul_i32 s5, s25, s2
	s_add_i32 s5, s4, s5
	s_mul_i32 s4, s24, s2
	s_lshl_b64 s[4:5], s[4:5], 1
	s_add_u32 s6, s20, s4
	v_lshlrev_b32_e32 v1, 3, v0
	s_addc_u32 s7, s21, s5
	v_cmp_gt_u32_e64 s[20:21], s8, v1
	v_mov_b32_e32 v26, 0
	v_lshlrev_b32_e32 v50, 4, v0
	v_mov_b32_e32 v22, 0
	v_mov_b32_e32 v23, 0
	;; [unrolled: 1-line block ×8, first 2 shown]
	s_and_saveexec_b64 s[4:5], s[20:21]
	s_cbranch_execz .LBB36_2
; %bb.1:
	global_load_dwordx4 v[2:5], v50, s[6:7]
	s_waitcnt vmcnt(0)
	v_lshlrev_b32_e32 v14, 16, v3
	v_and_b32_e32 v15, 0xffff0000, v2
	v_and_b32_e32 v16, 0xffff0000, v3
	v_lshlrev_b32_e32 v17, 16, v2
	v_lshlrev_b32_e32 v22, 16, v5
	v_and_b32_e32 v23, 0xffff0000, v4
	v_and_b32_e32 v24, 0xffff0000, v5
	v_lshlrev_b32_e32 v25, 16, v4
.LBB36_2:
	s_or_b64 exec, exec, s[4:5]
	s_and_b32 s9, 0xffff, s9
	v_add_u32_e32 v1, s9, v0
	v_lshlrev_b32_e32 v2, 3, v1
	v_cmp_gt_u32_e32 vcc, s8, v2
	v_lshlrev_b32_e32 v48, 4, v1
	v_mov_b32_e32 v27, 0
	v_mov_b32_e32 v32, 0
	;; [unrolled: 1-line block ×7, first 2 shown]
	s_and_saveexec_b64 s[4:5], vcc
	s_cbranch_execz .LBB36_4
; %bb.3:
	global_load_dwordx4 v[2:5], v48, s[6:7]
	s_waitcnt vmcnt(0)
	v_lshlrev_b32_e32 v28, 16, v3
	v_and_b32_e32 v29, 0xffff0000, v2
	v_and_b32_e32 v30, 0xffff0000, v3
	v_lshlrev_b32_e32 v31, 16, v2
	v_lshlrev_b32_e32 v26, 16, v5
	v_and_b32_e32 v27, 0xffff0000, v4
	v_and_b32_e32 v32, 0xffff0000, v5
	v_lshlrev_b32_e32 v33, 16, v4
.LBB36_4:
	s_or_b64 exec, exec, s[4:5]
	v_add_u32_e32 v1, s9, v1
	v_lshlrev_b32_e32 v2, 3, v1
	v_cmp_gt_u32_e64 s[18:19], s8, v2
	v_mov_b32_e32 v2, 0
	v_lshlrev_b32_e32 v49, 4, v1
	v_mov_b32_e32 v6, 0
	v_mov_b32_e32 v7, 0
	;; [unrolled: 1-line block ×8, first 2 shown]
	s_and_saveexec_b64 s[4:5], s[18:19]
	s_cbranch_execz .LBB36_6
; %bb.5:
	global_load_dwordx4 v[6:9], v49, s[6:7]
	s_waitcnt vmcnt(0)
	v_lshlrev_b32_e32 v34, 16, v7
	v_and_b32_e32 v35, 0xffff0000, v6
	v_and_b32_e32 v36, 0xffff0000, v7
	v_lshlrev_b32_e32 v37, 16, v6
	v_lshlrev_b32_e32 v6, 16, v9
	v_and_b32_e32 v7, 0xffff0000, v8
	v_and_b32_e32 v12, 0xffff0000, v9
	v_lshlrev_b32_e32 v13, 16, v8
.LBB36_6:
	s_or_b64 exec, exec, s[4:5]
	s_load_dword s24, s[0:1], 0x20
	v_add_u32_e32 v1, s9, v1
	v_lshlrev_b32_e32 v3, 3, v1
	v_cmp_gt_u32_e64 s[4:5], s8, v3
	v_lshlrev_b32_e32 v51, 4, v1
	v_mov_b32_e32 v8, 0
	v_mov_b32_e32 v4, 0
	;; [unrolled: 1-line block ×7, first 2 shown]
	s_and_saveexec_b64 s[0:1], s[4:5]
	s_cbranch_execz .LBB36_8
; %bb.7:
	global_load_dwordx4 v[18:21], v51, s[6:7]
	s_waitcnt vmcnt(0)
	v_lshlrev_b32_e32 v5, 16, v18
	v_and_b32_e32 v11, 0xffff0000, v18
	v_lshlrev_b32_e32 v3, 16, v19
	v_and_b32_e32 v9, 0xffff0000, v19
	;; [unrolled: 2-line block ×4, first 2 shown]
.LBB36_8:
	s_or_b64 exec, exec, s[0:1]
	v_pk_add_f32 v[40:41], v[14:15], v[16:17]
	v_pk_add_f32 v[52:53], v[22:23], v[24:25]
	v_pk_add_f32 v[38:39], v[14:15], v[16:17] neg_lo:[0,1] neg_hi:[0,1]
	v_pk_add_f32 v[42:43], v[16:17], v[14:15] neg_lo:[0,1] neg_hi:[0,1]
	;; [unrolled: 1-line block ×3, first 2 shown]
	v_pk_add_f32 v[20:21], v[28:29], v[30:31]
	v_pk_add_f32 v[30:31], v[30:31], v[28:29] neg_lo:[0,1] neg_hi:[0,1]
	v_pk_add_f32 v[14:15], v[34:35], v[36:37] neg_lo:[0,1] neg_hi:[0,1]
	v_pk_add_f32 v[16:17], v[34:35], v[36:37]
	v_pk_add_f32 v[28:29], v[36:37], v[34:35] neg_lo:[0,1] neg_hi:[0,1]
	v_pk_add_f32 v[46:47], v[22:23], v[24:25] neg_lo:[0,1] neg_hi:[0,1]
	;; [unrolled: 1-line block ×4, first 2 shown]
	v_pk_add_f32 v[24:25], v[26:27], v[32:33]
	v_pk_add_f32 v[26:27], v[32:33], v[26:27] neg_lo:[0,1] neg_hi:[0,1]
	v_mov_b32_e32 v32, v52
	v_mov_b32_e32 v33, v40
	;; [unrolled: 1-line block ×4, first 2 shown]
	v_pk_mov_b32 v[44:45], v[42:43], v[40:41] op_sel:[1,0]
	v_pk_add_f32 v[32:33], v[32:33], v[34:35]
	v_mov_b32_e32 v42, v37
	v_mov_b32_e32 v34, v46
	v_mov_b32_e32 v35, v38
	v_pk_add_f32 v[34:35], v[42:43], v[34:35] neg_lo:[0,1] neg_hi:[0,1]
	v_pk_mov_b32 v[42:43], v[36:37], v[52:53] op_sel:[1,0]
	v_mbcnt_lo_u32_b32 v36, -1, 0
	v_mbcnt_hi_u32_b32 v60, -1, v36
	v_and_b32_e32 v36, 64, v60
	v_add_u32_e32 v61, 64, v36
	v_pk_add_f32 v[36:37], v[38:39], v[44:45]
	v_pk_add_f32 v[38:39], v[40:41], v[44:45] neg_lo:[0,1] neg_hi:[0,1]
	v_xor_b32_e32 v37, 1, v60
	v_cmp_lt_i32_e64 s[0:1], v37, v61
	v_add_f32_e32 v1, v32, v33
	v_add_f32_e32 v56, v34, v35
	v_cndmask_b32_e64 v37, v60, v37, s[0:1]
	v_lshlrev_b32_e32 v40, 2, v37
	v_mov_b32_e32 v37, v39
	v_pk_add_f32 v[38:39], v[46:47], v[42:43]
	v_pk_add_f32 v[42:43], v[52:53], v[42:43] neg_lo:[0,1] neg_hi:[0,1]
	ds_bpermute_b32 v44, v40, v1
	v_mov_b32_e32 v39, v43
	v_pk_add_f32 v[42:43], v[38:39], v[36:37]
	ds_bpermute_b32 v45, v40, v42
	ds_bpermute_b32 v46, v40, v43
	;; [unrolled: 1-line block ×3, first 2 shown]
	v_and_b32_e32 v54, 1, v0
	v_xor_b32_e32 v41, 2, v60
	v_cmp_eq_u32_e64 s[6:7], 0, v54
	v_cmp_lt_i32_e64 s[0:1], v41, v61
	s_waitcnt lgkmcnt(0)
	v_cndmask_b32_e64 v54, -v1, v1, s[6:7]
	v_cndmask_b32_e64 v55, -v42, v42, s[6:7]
	;; [unrolled: 1-line block ×4, first 2 shown]
	v_cndmask_b32_e64 v41, v60, v41, s[0:1]
	v_lshlrev_b32_e32 v41, 2, v41
	v_pk_add_f32 v[42:43], v[42:43], v[46:47]
	v_pk_add_f32 v[44:45], v[54:55], v[44:45]
	v_and_b32_e32 v1, 2, v0
	ds_bpermute_b32 v46, v41, v44
	ds_bpermute_b32 v47, v41, v45
	;; [unrolled: 1-line block ×4, first 2 shown]
	v_cmp_eq_u32_e64 s[8:9], 0, v1
	v_and_b32_e32 v1, 4, v0
	v_cmp_eq_u32_e64 s[10:11], 0, v1
	v_cndmask_b32_e64 v54, -v42, v42, s[8:9]
	v_xor_b32_e32 v42, 4, v60
	v_cmp_lt_i32_e64 s[0:1], v42, v61
	v_cndmask_b32_e64 v45, -v45, v45, s[8:9]
	v_cndmask_b32_e64 v44, -v44, v44, s[8:9]
	;; [unrolled: 1-line block ×3, first 2 shown]
	v_cndmask_b32_e64 v42, v60, v42, s[0:1]
	v_lshlrev_b32_e32 v43, 2, v42
	s_waitcnt lgkmcnt(0)
	v_pk_add_f32 v[52:53], v[54:55], v[52:53]
	v_pk_add_f32 v[44:45], v[44:45], v[46:47]
	ds_bpermute_b32 v46, v43, v44
	ds_bpermute_b32 v47, v43, v45
	;; [unrolled: 1-line block ×4, first 2 shown]
	v_xor_b32_e32 v42, 8, v60
	v_cmp_lt_i32_e64 s[0:1], v42, v61
	v_cndmask_b32_e64 v55, -v45, v45, s[10:11]
	v_cndmask_b32_e64 v54, -v44, v44, s[10:11]
	;; [unrolled: 1-line block ×4, first 2 shown]
	v_cndmask_b32_e64 v42, v60, v42, s[0:1]
	s_waitcnt lgkmcnt(0)
	v_pk_add_f32 v[52:53], v[44:45], v[56:57]
	v_lshlrev_b32_e32 v44, 2, v42
	v_pk_add_f32 v[46:47], v[54:55], v[46:47]
	ds_bpermute_b32 v54, v44, v46
	ds_bpermute_b32 v55, v44, v47
	;; [unrolled: 1-line block ×4, first 2 shown]
	v_and_b32_e32 v1, 8, v0
	v_xor_b32_e32 v42, 16, v60
	v_cmp_eq_u32_e64 s[12:13], 0, v1
	v_cmp_lt_i32_e64 s[0:1], v42, v61
	v_and_b32_e32 v1, 16, v0
	v_cndmask_b32_e64 v47, -v47, v47, s[12:13]
	v_cndmask_b32_e64 v46, -v46, v46, s[12:13]
	;; [unrolled: 1-line block ×4, first 2 shown]
	v_cndmask_b32_e64 v42, v60, v42, s[0:1]
	s_waitcnt lgkmcnt(0)
	v_pk_add_f32 v[52:53], v[52:53], v[56:57]
	v_lshlrev_b32_e32 v45, 2, v42
	v_pk_add_f32 v[46:47], v[46:47], v[54:55]
	ds_bpermute_b32 v54, v45, v46
	ds_bpermute_b32 v55, v45, v47
	;; [unrolled: 1-line block ×4, first 2 shown]
	v_cmp_eq_u32_e64 s[14:15], 0, v1
	v_xor_b32_e32 v1, 32, v60
	v_cmp_lt_i32_e64 s[0:1], v1, v61
	v_cndmask_b32_e64 v59, -v47, v47, s[14:15]
	v_cndmask_b32_e64 v58, -v46, v46, s[14:15]
	;; [unrolled: 1-line block ×4, first 2 shown]
	v_cndmask_b32_e64 v1, v60, v1, s[0:1]
	s_waitcnt lgkmcnt(0)
	v_pk_add_f32 v[52:53], v[46:47], v[56:57]
	v_lshlrev_b32_e32 v46, 2, v1
	v_pk_add_f32 v[54:55], v[58:59], v[54:55]
	ds_bpermute_b32 v56, v46, v54
	ds_bpermute_b32 v57, v46, v55
	;; [unrolled: 1-line block ×4, first 2 shown]
	v_and_b32_e32 v42, 32, v0
	v_cmp_eq_u32_e64 s[16:17], 0, v42
	v_lshrrev_b32_e32 v1, 6, v0
	v_xor_b32_e32 v1, v1, v0
	v_cndmask_b32_e64 v61, -v55, v55, s[16:17]
	v_cndmask_b32_e64 v60, -v54, v54, s[16:17]
	;; [unrolled: 1-line block ×4, first 2 shown]
	s_waitcnt lgkmcnt(0)
	v_pk_add_f32 v[54:55], v[52:53], v[58:59]
	v_pk_add_f32 v[52:53], v[60:61], v[56:57]
	v_lshl_add_u32 v42, v1, 4, 0
	v_pk_add_f32 v[56:57], v[6:7], v[12:13] neg_lo:[0,1] neg_hi:[0,1]
	v_pk_add_f32 v[58:59], v[6:7], v[12:13]
	v_pk_add_f32 v[6:7], v[12:13], v[6:7] neg_lo:[0,1] neg_hi:[0,1]
	s_barrier
	ds_write_b128 v42, v[52:55]
	v_mov_b32_e32 v12, v24
	v_mov_b32_e32 v13, v20
	;; [unrolled: 1-line block ×4, first 2 shown]
	v_pk_add_f32 v[12:13], v[12:13], v[52:53]
	v_mov_b32_e32 v52, v58
	v_mov_b32_e32 v53, v16
	;; [unrolled: 1-line block ×4, first 2 shown]
	v_pk_add_f32 v[52:53], v[52:53], v[54:55]
	v_pk_add_f32 v[54:55], v[10:11], v[4:5]
	;; [unrolled: 1-line block ×3, first 2 shown]
	v_mov_b32_e32 v64, v22
	v_pk_add_f32 v[62:63], v[60:61], v[54:55]
	v_pk_add_f32 v[54:55], v[54:55], v[60:61] neg_lo:[0,1] neg_hi:[0,1]
	v_pk_mov_b32 v[60:61], v[30:31], v[20:21] op_sel:[1,0]
	v_mov_b32_e32 v30, v27
	v_mov_b32_e32 v65, v18
	v_pk_add_f32 v[4:5], v[4:5], v[10:11] neg_lo:[0,1] neg_hi:[0,1]
	v_pk_add_f32 v[2:3], v[2:3], v[8:9] neg_lo:[0,1] neg_hi:[0,1]
	;; [unrolled: 1-line block ×3, first 2 shown]
	v_pk_mov_b32 v[64:65], v[28:29], v[16:17] op_sel:[1,0]
	v_mov_b32_e32 v28, v7
	v_mov_b32_e32 v66, v56
	;; [unrolled: 1-line block ×3, first 2 shown]
	v_pk_add_f32 v[8:9], v[2:3], v[4:5]
	v_pk_add_f32 v[2:3], v[4:5], v[2:3] neg_lo:[0,1] neg_hi:[0,1]
	v_pk_add_f32 v[28:29], v[28:29], v[66:67] neg_lo:[0,1] neg_hi:[0,1]
	;; [unrolled: 1-line block ×3, first 2 shown]
	v_sub_f32_e32 v1, v33, v32
	v_add_f32_e32 v32, v12, v13
	v_sub_f32_e32 v33, v13, v12
	v_add_f32_e32 v66, v62, v63
	;; [unrolled: 2-line block ×3, first 2 shown]
	v_sub_f32_e32 v67, v9, v8
	v_sub_f32_e32 v12, v35, v34
	v_add_f32_e32 v71, v2, v3
	v_sub_f32_e32 v72, v3, v2
	v_pk_add_f32 v[2:3], v[18:19], v[60:61]
	v_pk_add_f32 v[8:9], v[20:21], v[60:61] neg_lo:[0,1] neg_hi:[0,1]
	ds_bpermute_b32 v11, v40, v4
	v_cndmask_b32_e64 v19, -v4, v4, s[6:7]
	v_mov_b32_e32 v3, v9
	ds_bpermute_b32 v4, v40, v5
	v_cndmask_b32_e64 v8, -v5, v5, s[6:7]
	ds_bpermute_b32 v5, v40, v12
	v_cndmask_b32_e64 v9, -v12, v12, s[6:7]
	v_pk_mov_b32 v[12:13], v[26:27], v[24:25] op_sel:[1,0]
	v_sub_f32_e32 v35, v31, v30
	v_pk_add_f32 v[20:21], v[22:23], v[12:13]
	v_pk_add_f32 v[12:13], v[24:25], v[12:13] neg_lo:[0,1] neg_hi:[0,1]
	v_add_f32_e32 v34, v30, v31
	v_mov_b32_e32 v21, v13
	v_pk_add_f32 v[12:13], v[2:3], v[20:21] neg_lo:[0,1] neg_hi:[0,1]
	v_add_f32_e32 v39, v28, v29
	v_sub_f32_e32 v70, v29, v28
	ds_bpermute_b32 v24, v40, v32
	v_cndmask_b32_e64 v26, -v32, v32, s[6:7]
	ds_bpermute_b32 v28, v40, v33
	v_cndmask_b32_e64 v30, -v33, v33, s[6:7]
	ds_bpermute_b32 v29, v40, v12
	ds_bpermute_b32 v32, v40, v13
	;; [unrolled: 1-line block ×3, first 2 shown]
	v_add_f32_e32 v36, v52, v53
	v_sub_f32_e32 v47, v53, v52
	v_add_f32_e32 v68, v54, v55
	v_sub_f32_e32 v69, v55, v54
	ds_bpermute_b32 v53, v40, v34
	v_cndmask_b32_e64 v55, -v34, v34, s[6:7]
	v_cndmask_b32_e64 v31, -v12, v12, s[6:7]
	v_cndmask_b32_e64 v34, -v13, v13, s[6:7]
	v_cndmask_b32_e64 v35, -v35, v35, s[6:7]
	s_waitcnt lgkmcnt(1)
	v_pk_add_f32 v[32:33], v[34:35], v[32:33]
	v_pk_add_f32 v[28:29], v[30:31], v[28:29]
	ds_bpermute_b32 v30, v41, v28
	ds_bpermute_b32 v31, v41, v29
	ds_bpermute_b32 v34, v41, v32
	ds_bpermute_b32 v35, v41, v33
	v_cndmask_b32_e64 v29, -v29, v29, s[8:9]
	v_cndmask_b32_e64 v28, -v28, v28, s[8:9]
	v_cndmask_b32_e64 v33, -v33, v33, s[8:9]
	v_cndmask_b32_e64 v32, -v32, v32, s[8:9]
	s_waitcnt lgkmcnt(0)
	v_pk_add_f32 v[32:33], v[32:33], v[34:35]
	v_pk_add_f32 v[28:29], v[28:29], v[30:31]
	ds_bpermute_b32 v30, v43, v28
	ds_bpermute_b32 v31, v43, v29
	ds_bpermute_b32 v34, v43, v32
	;; [unrolled: 11-line block ×4, first 2 shown]
	ds_bpermute_b32 v35, v45, v33
	v_pk_add_f32 v[2:3], v[20:21], v[2:3]
	ds_bpermute_b32 v25, v40, v2
	ds_bpermute_b32 v52, v40, v3
	v_cndmask_b32_e64 v27, -v2, v2, s[6:7]
	v_cndmask_b32_e64 v54, -v3, v3, s[6:7]
	v_pk_add_f32 v[2:3], v[14:15], v[64:65]
	v_pk_add_f32 v[14:15], v[16:17], v[64:65] neg_lo:[0,1] neg_hi:[0,1]
	v_pk_mov_b32 v[6:7], v[6:7], v[58:59] op_sel:[1,0]
	v_mov_b32_e32 v3, v15
	v_pk_add_f32 v[14:15], v[56:57], v[6:7]
	v_pk_add_f32 v[6:7], v[58:59], v[6:7] neg_lo:[0,1] neg_hi:[0,1]
	v_cndmask_b32_e64 v29, -v29, v29, s[14:15]
	v_cndmask_b32_e64 v28, -v28, v28, s[14:15]
	;; [unrolled: 1-line block ×4, first 2 shown]
	v_mov_b32_e32 v15, v7
	s_waitcnt lgkmcnt(2)
	v_pk_add_f32 v[32:33], v[32:33], v[34:35]
	v_pk_add_f32 v[28:29], v[28:29], v[30:31]
	v_pk_add_f32 v[6:7], v[2:3], v[14:15] neg_lo:[0,1] neg_hi:[0,1]
	v_pk_add_f32 v[2:3], v[14:15], v[2:3]
	ds_bpermute_b32 v34, v46, v28
	ds_bpermute_b32 v35, v46, v29
	;; [unrolled: 1-line block ×5, first 2 shown]
	v_cndmask_b32_e64 v14, -v36, v36, s[6:7]
	ds_bpermute_b32 v13, v40, v2
	ds_bpermute_b32 v36, v40, v3
	ds_bpermute_b32 v37, v40, v39
	v_pk_add_f32 v[4:5], v[8:9], v[4:5]
	ds_bpermute_b32 v16, v41, v4
	ds_bpermute_b32 v17, v41, v5
	v_cndmask_b32_e64 v29, -v29, v29, s[16:17]
	v_cndmask_b32_e64 v28, -v28, v28, s[16:17]
	;; [unrolled: 1-line block ×4, first 2 shown]
	ds_bpermute_b32 v10, v40, v1
	v_cndmask_b32_e64 v15, -v2, v2, s[6:7]
	v_cndmask_b32_e64 v38, -v3, v3, s[6:7]
	;; [unrolled: 1-line block ×3, first 2 shown]
	s_waitcnt lgkmcnt(7)
	v_pk_add_f32 v[30:31], v[32:33], v[30:31]
	v_pk_add_f32 v[28:29], v[28:29], v[34:35]
	ds_write_b128 v42, v[28:31] offset:12288
	s_waitcnt lgkmcnt(4)
	v_pk_add_f32 v[28:29], v[38:39], v[36:37]
	v_pk_add_f32 v[12:13], v[14:15], v[12:13]
	v_cndmask_b32_e64 v5, -v5, v5, s[8:9]
	v_cndmask_b32_e64 v4, -v4, v4, s[8:9]
	ds_bpermute_b32 v14, v41, v12
	ds_bpermute_b32 v15, v41, v13
	;; [unrolled: 1-line block ×4, first 2 shown]
	s_waitcnt lgkmcnt(6)
	v_pk_add_f32 v[4:5], v[4:5], v[16:17]
	v_cndmask_b32_e64 v18, -v1, v1, s[6:7]
	ds_bpermute_b32 v16, v43, v4
	ds_bpermute_b32 v17, v43, v5
	s_waitcnt lgkmcnt(7)
	v_pk_add_f32 v[8:9], v[18:19], v[10:11]
	ds_bpermute_b32 v10, v41, v8
	ds_bpermute_b32 v11, v41, v9
	v_cndmask_b32_e64 v13, -v13, v13, s[8:9]
	v_cndmask_b32_e64 v12, -v12, v12, s[8:9]
	v_cndmask_b32_e64 v29, -v29, v29, s[8:9]
	v_cndmask_b32_e64 v28, -v28, v28, s[8:9]
	s_waitcnt lgkmcnt(4)
	v_pk_add_f32 v[28:29], v[28:29], v[30:31]
	v_pk_add_f32 v[12:13], v[12:13], v[14:15]
	v_cndmask_b32_e64 v5, -v5, v5, s[10:11]
	v_cndmask_b32_e64 v4, -v4, v4, s[10:11]
	ds_bpermute_b32 v14, v43, v12
	ds_bpermute_b32 v15, v43, v13
	ds_bpermute_b32 v30, v43, v28
	ds_bpermute_b32 v31, v43, v29
	s_waitcnt lgkmcnt(6)
	v_pk_add_f32 v[4:5], v[4:5], v[16:17]
	v_cndmask_b32_e64 v9, -v9, v9, s[8:9]
	v_cndmask_b32_e64 v8, -v8, v8, s[8:9]
	ds_bpermute_b32 v16, v44, v4
	ds_bpermute_b32 v17, v44, v5
	s_waitcnt lgkmcnt(6)
	v_pk_add_f32 v[8:9], v[8:9], v[10:11]
	ds_bpermute_b32 v10, v43, v8
	ds_bpermute_b32 v11, v43, v9
	v_cndmask_b32_e64 v13, -v13, v13, s[10:11]
	v_cndmask_b32_e64 v12, -v12, v12, s[10:11]
	v_cndmask_b32_e64 v29, -v29, v29, s[10:11]
	v_cndmask_b32_e64 v28, -v28, v28, s[10:11]
	s_waitcnt lgkmcnt(4)
	v_pk_add_f32 v[28:29], v[28:29], v[30:31]
	v_pk_add_f32 v[12:13], v[12:13], v[14:15]
	v_cndmask_b32_e64 v5, -v5, v5, s[12:13]
	v_cndmask_b32_e64 v4, -v4, v4, s[12:13]
	ds_bpermute_b32 v14, v44, v12
	ds_bpermute_b32 v15, v44, v13
	ds_bpermute_b32 v30, v44, v28
	ds_bpermute_b32 v31, v44, v29
	s_waitcnt lgkmcnt(6)
	v_pk_add_f32 v[4:5], v[4:5], v[16:17]
	v_cndmask_b32_e64 v9, -v9, v9, s[10:11]
	;; [unrolled: 23-line block ×3, first 2 shown]
	v_cndmask_b32_e64 v8, -v8, v8, s[12:13]
	ds_bpermute_b32 v16, v46, v4
	ds_bpermute_b32 v17, v46, v5
	s_waitcnt lgkmcnt(6)
	v_pk_add_f32 v[8:9], v[8:9], v[10:11]
	ds_bpermute_b32 v10, v45, v8
	ds_bpermute_b32 v11, v45, v9
	v_cndmask_b32_e64 v13, -v13, v13, s[14:15]
	v_cndmask_b32_e64 v12, -v12, v12, s[14:15]
	;; [unrolled: 1-line block ×4, first 2 shown]
	s_waitcnt lgkmcnt(4)
	v_pk_add_f32 v[28:29], v[28:29], v[30:31]
	v_pk_add_f32 v[12:13], v[12:13], v[14:15]
	v_cndmask_b32_e64 v5, -v5, v5, s[16:17]
	v_cndmask_b32_e64 v4, -v4, v4, s[16:17]
	ds_bpermute_b32 v30, v46, v12
	ds_bpermute_b32 v31, v46, v13
	;; [unrolled: 1-line block ×4, first 2 shown]
	s_waitcnt lgkmcnt(6)
	v_pk_add_f32 v[4:5], v[4:5], v[16:17]
	ds_bpermute_b32 v16, v40, v47
	ds_bpermute_b32 v17, v40, v6
	;; [unrolled: 1-line block ×4, first 2 shown]
	v_cndmask_b32_e64 v9, -v9, v9, s[14:15]
	v_cndmask_b32_e64 v8, -v8, v8, s[14:15]
	s_waitcnt lgkmcnt(8)
	v_pk_add_f32 v[8:9], v[8:9], v[10:11]
	ds_bpermute_b32 v10, v46, v8
	ds_bpermute_b32 v11, v46, v9
	v_cndmask_b32_e64 v13, -v13, v13, s[16:17]
	v_cndmask_b32_e64 v12, -v12, v12, s[16:17]
	;; [unrolled: 1-line block ×8, first 2 shown]
	s_waitcnt lgkmcnt(6)
	v_pk_add_f32 v[14:15], v[28:29], v[14:15]
	v_pk_add_f32 v[12:13], v[12:13], v[30:31]
	ds_write_b128 v42, v[12:15] offset:16384
	s_waitcnt lgkmcnt(3)
	v_pk_add_f32 v[12:13], v[22:23], v[20:21]
	v_pk_add_f32 v[14:15], v[18:19], v[16:17]
	ds_bpermute_b32 v16, v41, v14
	ds_bpermute_b32 v17, v41, v15
	;; [unrolled: 1-line block ×4, first 2 shown]
	v_cndmask_b32_e64 v9, -v9, v9, s[16:17]
	v_cndmask_b32_e64 v8, -v8, v8, s[16:17]
	v_pk_add_f32 v[6:7], v[54:55], v[52:53]
	s_waitcnt lgkmcnt(5)
	v_pk_add_f32 v[2:3], v[8:9], v[10:11]
	v_pk_add_f32 v[8:9], v[26:27], v[24:25]
	ds_bpermute_b32 v24, v41, v6
	ds_bpermute_b32 v25, v41, v7
	v_cndmask_b32_e64 v15, -v15, v15, s[8:9]
	v_cndmask_b32_e64 v14, -v14, v14, s[8:9]
	v_cndmask_b32_e64 v13, -v13, v13, s[8:9]
	v_cndmask_b32_e64 v12, -v12, v12, s[8:9]
	s_waitcnt lgkmcnt(2)
	v_pk_add_f32 v[12:13], v[12:13], v[18:19]
	v_pk_add_f32 v[14:15], v[14:15], v[16:17]
	v_cndmask_b32_e64 v7, -v7, v7, s[8:9]
	v_cndmask_b32_e64 v6, -v6, v6, s[8:9]
	ds_bpermute_b32 v16, v43, v14
	ds_bpermute_b32 v17, v43, v15
	ds_bpermute_b32 v18, v43, v12
	ds_bpermute_b32 v19, v43, v13
	s_waitcnt lgkmcnt(4)
	v_pk_add_f32 v[6:7], v[6:7], v[24:25]
	ds_bpermute_b32 v24, v43, v6
	ds_bpermute_b32 v25, v43, v7
	v_cndmask_b32_e64 v15, -v15, v15, s[10:11]
	v_cndmask_b32_e64 v14, -v14, v14, s[10:11]
	v_cndmask_b32_e64 v13, -v13, v13, s[10:11]
	v_cndmask_b32_e64 v12, -v12, v12, s[10:11]
	s_waitcnt lgkmcnt(2)
	v_pk_add_f32 v[12:13], v[12:13], v[18:19]
	v_pk_add_f32 v[14:15], v[14:15], v[16:17]
	v_cndmask_b32_e64 v7, -v7, v7, s[10:11]
	v_cndmask_b32_e64 v6, -v6, v6, s[10:11]
	ds_bpermute_b32 v16, v44, v14
	ds_bpermute_b32 v17, v44, v15
	ds_bpermute_b32 v18, v44, v12
	ds_bpermute_b32 v19, v44, v13
	s_waitcnt lgkmcnt(4)
	;; [unrolled: 17-line block ×3, first 2 shown]
	v_pk_add_f32 v[6:7], v[6:7], v[24:25]
	ds_bpermute_b32 v24, v45, v6
	ds_bpermute_b32 v25, v45, v7
	v_cndmask_b32_e64 v15, -v15, v15, s[14:15]
	v_cndmask_b32_e64 v14, -v14, v14, s[14:15]
	;; [unrolled: 1-line block ×4, first 2 shown]
	s_waitcnt lgkmcnt(2)
	v_pk_add_f32 v[12:13], v[12:13], v[18:19]
	v_pk_add_f32 v[14:15], v[14:15], v[16:17]
	v_cndmask_b32_e64 v7, -v7, v7, s[14:15]
	v_cndmask_b32_e64 v6, -v6, v6, s[14:15]
	ds_bpermute_b32 v16, v46, v14
	ds_bpermute_b32 v17, v46, v15
	;; [unrolled: 1-line block ×4, first 2 shown]
	ds_write_b128 v42, v[2:5] offset:4096
	ds_bpermute_b32 v2, v40, v66
	ds_bpermute_b32 v3, v40, v63
	s_waitcnt lgkmcnt(7)
	v_pk_add_f32 v[6:7], v[6:7], v[24:25]
	ds_bpermute_b32 v24, v40, v68
	ds_bpermute_b32 v25, v40, v71
	ds_bpermute_b32 v10, v41, v8
	ds_bpermute_b32 v11, v41, v9
	v_cndmask_b32_e64 v21, -v15, v15, s[16:17]
	v_cndmask_b32_e64 v20, -v14, v14, s[16:17]
	;; [unrolled: 1-line block ×8, first 2 shown]
	s_waitcnt lgkmcnt(7)
	v_pk_add_f32 v[14:15], v[12:13], v[18:19]
	v_pk_add_f32 v[12:13], v[20:21], v[16:17]
	v_cndmask_b32_e64 v9, -v9, v9, s[8:9]
	v_cndmask_b32_e64 v8, -v8, v8, s[8:9]
	ds_write_b128 v42, v[12:15] offset:20480
	s_waitcnt lgkmcnt(3)
	v_pk_add_f32 v[12:13], v[26:27], v[24:25]
	v_pk_add_f32 v[2:3], v[4:5], v[2:3]
	s_waitcnt lgkmcnt(1)
	v_pk_add_f32 v[8:9], v[8:9], v[10:11]
	ds_bpermute_b32 v4, v41, v2
	ds_bpermute_b32 v5, v41, v3
	ds_bpermute_b32 v14, v41, v12
	ds_bpermute_b32 v15, v41, v13
	ds_bpermute_b32 v10, v43, v8
	ds_bpermute_b32 v11, v43, v9
	v_cndmask_b32_e64 v3, -v3, v3, s[8:9]
	v_cndmask_b32_e64 v2, -v2, v2, s[8:9]
	v_cndmask_b32_e64 v13, -v13, v13, s[8:9]
	v_cndmask_b32_e64 v12, -v12, v12, s[8:9]
	v_cndmask_b32_e64 v9, -v9, v9, s[10:11]
	v_cndmask_b32_e64 v8, -v8, v8, s[10:11]
	s_waitcnt lgkmcnt(2)
	v_pk_add_f32 v[12:13], v[12:13], v[14:15]
	v_pk_add_f32 v[2:3], v[2:3], v[4:5]
	s_waitcnt lgkmcnt(0)
	v_pk_add_f32 v[8:9], v[8:9], v[10:11]
	ds_bpermute_b32 v4, v43, v2
	ds_bpermute_b32 v5, v43, v3
	ds_bpermute_b32 v14, v43, v12
	ds_bpermute_b32 v15, v43, v13
	ds_bpermute_b32 v10, v44, v8
	ds_bpermute_b32 v11, v44, v9
	v_cndmask_b32_e64 v3, -v3, v3, s[10:11]
	v_cndmask_b32_e64 v2, -v2, v2, s[10:11]
	v_cndmask_b32_e64 v13, -v13, v13, s[10:11]
	v_cndmask_b32_e64 v12, -v12, v12, s[10:11]
	v_cndmask_b32_e64 v9, -v9, v9, s[12:13]
	v_cndmask_b32_e64 v8, -v8, v8, s[12:13]
	s_waitcnt lgkmcnt(2)
	v_pk_add_f32 v[12:13], v[12:13], v[14:15]
	v_pk_add_f32 v[2:3], v[2:3], v[4:5]
	s_waitcnt lgkmcnt(0)
	v_pk_add_f32 v[8:9], v[8:9], v[10:11]
	ds_bpermute_b32 v4, v44, v2
	ds_bpermute_b32 v5, v44, v3
	ds_bpermute_b32 v14, v44, v12
	ds_bpermute_b32 v15, v44, v13
	ds_bpermute_b32 v10, v45, v8
	ds_bpermute_b32 v11, v45, v9
	v_cndmask_b32_e64 v3, -v3, v3, s[12:13]
	v_cndmask_b32_e64 v2, -v2, v2, s[12:13]
	v_cndmask_b32_e64 v13, -v13, v13, s[12:13]
	v_cndmask_b32_e64 v12, -v12, v12, s[12:13]
	v_cndmask_b32_e64 v9, -v9, v9, s[14:15]
	v_cndmask_b32_e64 v8, -v8, v8, s[14:15]
	s_waitcnt lgkmcnt(2)
	v_pk_add_f32 v[12:13], v[12:13], v[14:15]
	v_pk_add_f32 v[2:3], v[2:3], v[4:5]
	s_waitcnt lgkmcnt(0)
	v_pk_add_f32 v[8:9], v[8:9], v[10:11]
	ds_bpermute_b32 v4, v45, v2
	ds_bpermute_b32 v5, v45, v3
	;; [unrolled: 1-line block ×8, first 2 shown]
	v_cndmask_b32_e64 v3, -v3, v3, s[14:15]
	v_cndmask_b32_e64 v2, -v2, v2, s[14:15]
	;; [unrolled: 1-line block ×8, first 2 shown]
	v_and_b32_e32 v1, 3, v0
	s_waitcnt lgkmcnt(4)
	v_pk_add_f32 v[12:13], v[12:13], v[14:15]
	v_pk_add_f32 v[2:3], v[2:3], v[4:5]
	s_waitcnt lgkmcnt(0)
	v_pk_add_f32 v[54:55], v[6:7], v[52:53]
	v_pk_add_f32 v[52:53], v[8:9], v[10:11]
	v_lshrrev_b32_e32 v0, 2, v0
	v_lshlrev_b32_e32 v10, 6, v1
	ds_bpermute_b32 v14, v46, v2
	ds_bpermute_b32 v15, v46, v3
	;; [unrolled: 1-line block ×6, first 2 shown]
	v_bitop3_b32 v47, v10, v1, v0 bitop3:0x36
	ds_bpermute_b32 v0, v40, v69
	ds_bpermute_b32 v1, v40, v72
	v_cndmask_b32_e64 v3, -v3, v3, s[16:17]
	v_cndmask_b32_e64 v2, -v2, v2, s[16:17]
	;; [unrolled: 1-line block ×8, first 2 shown]
	s_waitcnt lgkmcnt(4)
	v_pk_add_f32 v[4:5], v[12:13], v[4:5]
	v_pk_add_f32 v[2:3], v[2:3], v[14:15]
	ds_write_b128 v42, v[2:5] offset:24576
	s_waitcnt lgkmcnt(1)
	v_pk_add_f32 v[0:1], v[10:11], v[0:1]
	v_pk_add_f32 v[2:3], v[8:9], v[6:7]
	ds_bpermute_b32 v4, v41, v2
	ds_bpermute_b32 v5, v41, v3
	ds_bpermute_b32 v6, v41, v0
	ds_bpermute_b32 v7, v41, v1
	v_cndmask_b32_e64 v3, -v3, v3, s[8:9]
	v_cndmask_b32_e64 v2, -v2, v2, s[8:9]
	v_cndmask_b32_e64 v1, -v1, v1, s[8:9]
	v_cndmask_b32_e64 v0, -v0, v0, s[8:9]
	s_waitcnt lgkmcnt(0)
	v_pk_add_f32 v[0:1], v[0:1], v[6:7]
	v_pk_add_f32 v[2:3], v[2:3], v[4:5]
	ds_bpermute_b32 v4, v43, v2
	ds_bpermute_b32 v5, v43, v3
	ds_bpermute_b32 v6, v43, v0
	ds_bpermute_b32 v7, v43, v1
	v_cndmask_b32_e64 v3, -v3, v3, s[10:11]
	v_cndmask_b32_e64 v2, -v2, v2, s[10:11]
	v_cndmask_b32_e64 v1, -v1, v1, s[10:11]
	v_cndmask_b32_e64 v0, -v0, v0, s[10:11]
	;; [unrolled: 11-line block ×5, first 2 shown]
	s_waitcnt lgkmcnt(0)
	v_pk_add_f32 v[2:3], v[0:1], v[6:7]
	v_pk_add_f32 v[0:1], v[8:9], v[4:5]
	v_lshl_add_u32 v36, v47, 4, 0
	ds_write_b128 v42, v[52:55] offset:8192
	ds_write_b128 v42, v[0:3] offset:28672
	s_waitcnt lgkmcnt(0)
	s_barrier
	ds_read_b128 v[0:3], v36
	ds_read_b128 v[4:7], v36 offset:4096
	s_mul_i32 s0, s26, s3
	s_mul_hi_u32 s1, s26, s2
	s_add_i32 s0, s1, s0
	s_waitcnt lgkmcnt(1)
	ds_bpermute_b32 v8, v40, v0
	ds_bpermute_b32 v9, v40, v1
	ds_bpermute_b32 v10, v40, v2
	ds_bpermute_b32 v11, v40, v3
	v_cndmask_b32_e64 v1, -v1, v1, s[6:7]
	v_cndmask_b32_e64 v0, -v0, v0, s[6:7]
	v_cndmask_b32_e64 v3, -v3, v3, s[6:7]
	v_cndmask_b32_e64 v2, -v2, v2, s[6:7]
	s_waitcnt lgkmcnt(0)
	v_pk_add_f32 v[2:3], v[2:3], v[10:11]
	v_pk_add_f32 v[0:1], v[0:1], v[8:9]
	ds_bpermute_b32 v8, v41, v0
	ds_bpermute_b32 v9, v41, v1
	ds_bpermute_b32 v10, v41, v2
	ds_bpermute_b32 v11, v41, v3
	v_cndmask_b32_e64 v1, -v1, v1, s[8:9]
	v_cndmask_b32_e64 v0, -v0, v0, s[8:9]
	v_cndmask_b32_e64 v3, -v3, v3, s[8:9]
	v_cndmask_b32_e64 v2, -v2, v2, s[8:9]
	s_waitcnt lgkmcnt(0)
	v_pk_add_f32 v[2:3], v[2:3], v[10:11]
	v_pk_add_f32 v[0:1], v[0:1], v[8:9]
	;; [unrolled: 11-line block ×3, first 2 shown]
	ds_bpermute_b32 v12, v41, v4
	ds_bpermute_b32 v13, v41, v5
	;; [unrolled: 1-line block ×4, first 2 shown]
	ds_read_b128 v[8:11], v36 offset:8192
	v_cndmask_b32_e64 v5, -v5, v5, s[8:9]
	v_cndmask_b32_e64 v4, -v4, v4, s[8:9]
	;; [unrolled: 1-line block ×4, first 2 shown]
	s_waitcnt lgkmcnt(1)
	v_pk_add_f32 v[6:7], v[6:7], v[14:15]
	v_pk_add_f32 v[4:5], v[4:5], v[12:13]
	ds_read_b128 v[12:15], v36 offset:12288
	s_waitcnt lgkmcnt(1)
	ds_bpermute_b32 v16, v40, v8
	ds_bpermute_b32 v17, v40, v9
	ds_bpermute_b32 v18, v40, v10
	ds_bpermute_b32 v19, v40, v11
	v_cndmask_b32_e64 v9, -v9, v9, s[6:7]
	v_cndmask_b32_e64 v8, -v8, v8, s[6:7]
	v_cndmask_b32_e64 v11, -v11, v11, s[6:7]
	v_cndmask_b32_e64 v10, -v10, v10, s[6:7]
	s_waitcnt lgkmcnt(0)
	v_pk_add_f32 v[10:11], v[10:11], v[18:19]
	v_pk_add_f32 v[8:9], v[8:9], v[16:17]
	ds_bpermute_b32 v16, v41, v8
	ds_bpermute_b32 v17, v41, v9
	ds_bpermute_b32 v18, v41, v10
	ds_bpermute_b32 v19, v41, v11
	v_cndmask_b32_e64 v9, -v9, v9, s[8:9]
	v_cndmask_b32_e64 v8, -v8, v8, s[8:9]
	v_cndmask_b32_e64 v11, -v11, v11, s[8:9]
	v_cndmask_b32_e64 v10, -v10, v10, s[8:9]
	s_waitcnt lgkmcnt(0)
	v_pk_add_f32 v[10:11], v[10:11], v[18:19]
	v_pk_add_f32 v[8:9], v[8:9], v[16:17]
	;; [unrolled: 11-line block ×3, first 2 shown]
	ds_bpermute_b32 v16, v41, v12
	ds_bpermute_b32 v17, v41, v13
	;; [unrolled: 1-line block ×4, first 2 shown]
	v_cndmask_b32_e64 v23, -v13, v13, s[8:9]
	v_cndmask_b32_e64 v22, -v12, v12, s[8:9]
	ds_read_b128 v[12:15], v36 offset:16384
	v_cndmask_b32_e64 v19, -v19, v19, s[8:9]
	v_cndmask_b32_e64 v18, -v18, v18, s[8:9]
	s_waitcnt lgkmcnt(1)
	v_pk_add_f32 v[18:19], v[18:19], v[20:21]
	v_pk_add_f32 v[16:17], v[22:23], v[16:17]
	ds_read_b128 v[20:23], v36 offset:20480
	s_waitcnt lgkmcnt(1)
	ds_bpermute_b32 v24, v40, v12
	ds_bpermute_b32 v25, v40, v13
	ds_bpermute_b32 v26, v40, v14
	ds_bpermute_b32 v27, v40, v15
	v_cndmask_b32_e64 v13, -v13, v13, s[6:7]
	v_cndmask_b32_e64 v12, -v12, v12, s[6:7]
	v_cndmask_b32_e64 v15, -v15, v15, s[6:7]
	v_cndmask_b32_e64 v14, -v14, v14, s[6:7]
	s_waitcnt lgkmcnt(0)
	v_pk_add_f32 v[14:15], v[14:15], v[26:27]
	v_pk_add_f32 v[12:13], v[12:13], v[24:25]
	ds_bpermute_b32 v24, v41, v12
	ds_bpermute_b32 v25, v41, v13
	ds_bpermute_b32 v26, v41, v14
	ds_bpermute_b32 v27, v41, v15
	v_cndmask_b32_e64 v13, -v13, v13, s[8:9]
	v_cndmask_b32_e64 v12, -v12, v12, s[8:9]
	v_cndmask_b32_e64 v15, -v15, v15, s[8:9]
	v_cndmask_b32_e64 v14, -v14, v14, s[8:9]
	s_waitcnt lgkmcnt(0)
	v_pk_add_f32 v[14:15], v[14:15], v[26:27]
	v_pk_add_f32 v[12:13], v[12:13], v[24:25]
	;; [unrolled: 11-line block ×3, first 2 shown]
	ds_bpermute_b32 v24, v41, v20
	ds_bpermute_b32 v25, v41, v21
	;; [unrolled: 1-line block ×4, first 2 shown]
	v_cndmask_b32_e64 v31, -v21, v21, s[8:9]
	v_cndmask_b32_e64 v30, -v20, v20, s[8:9]
	ds_read_b128 v[20:23], v36 offset:24576
	v_cndmask_b32_e64 v27, -v27, v27, s[8:9]
	v_cndmask_b32_e64 v26, -v26, v26, s[8:9]
	s_waitcnt lgkmcnt(1)
	v_pk_add_f32 v[26:27], v[26:27], v[28:29]
	v_pk_add_f32 v[24:25], v[30:31], v[24:25]
	ds_read_b128 v[28:31], v36 offset:28672
	s_waitcnt lgkmcnt(1)
	ds_bpermute_b32 v32, v40, v20
	ds_bpermute_b32 v33, v40, v21
	ds_bpermute_b32 v34, v40, v22
	ds_bpermute_b32 v35, v40, v23
	v_cndmask_b32_e64 v21, -v21, v21, s[6:7]
	v_cndmask_b32_e64 v20, -v20, v20, s[6:7]
	v_cndmask_b32_e64 v23, -v23, v23, s[6:7]
	v_cndmask_b32_e64 v22, -v22, v22, s[6:7]
	s_waitcnt lgkmcnt(0)
	v_pk_add_f32 v[22:23], v[22:23], v[34:35]
	v_pk_add_f32 v[20:21], v[20:21], v[32:33]
	ds_bpermute_b32 v32, v41, v20
	ds_bpermute_b32 v33, v41, v21
	ds_bpermute_b32 v34, v41, v22
	ds_bpermute_b32 v35, v41, v23
	v_cndmask_b32_e64 v21, -v21, v21, s[8:9]
	v_cndmask_b32_e64 v20, -v20, v20, s[8:9]
	v_cndmask_b32_e64 v23, -v23, v23, s[8:9]
	v_cndmask_b32_e64 v22, -v22, v22, s[8:9]
	s_waitcnt lgkmcnt(0)
	v_pk_add_f32 v[22:23], v[22:23], v[34:35]
	v_pk_add_f32 v[20:21], v[20:21], v[32:33]
	ds_bpermute_b32 v32, v40, v28
	ds_bpermute_b32 v33, v40, v29
	ds_bpermute_b32 v34, v40, v30
	ds_bpermute_b32 v35, v40, v31
	v_cndmask_b32_e64 v29, -v29, v29, s[6:7]
	v_cndmask_b32_e64 v28, -v28, v28, s[6:7]
	v_cndmask_b32_e64 v31, -v31, v31, s[6:7]
	v_cndmask_b32_e64 v30, -v30, v30, s[6:7]
	s_waitcnt lgkmcnt(0)
	v_pk_add_f32 v[30:31], v[30:31], v[34:35]
	v_pk_add_f32 v[28:29], v[28:29], v[32:33]
	ds_bpermute_b32 v32, v41, v28
	ds_bpermute_b32 v33, v41, v29
	ds_bpermute_b32 v34, v41, v30
	ds_bpermute_b32 v35, v41, v31
	v_cndmask_b32_e64 v29, -v29, v29, s[8:9]
	v_cndmask_b32_e64 v28, -v28, v28, s[8:9]
	v_cndmask_b32_e64 v31, -v31, v31, s[8:9]
	v_cndmask_b32_e64 v30, -v30, v30, s[8:9]
	s_waitcnt lgkmcnt(0)
	v_pk_add_f32 v[30:31], v[30:31], v[34:35]
	v_pk_add_f32 v[28:29], v[28:29], v[32:33]
	s_barrier
	ds_write_b128 v36, v[0:3]
	ds_write_b128 v36, v[4:7] offset:4096
	ds_write_b128 v36, v[8:11] offset:8192
	;; [unrolled: 1-line block ×7, first 2 shown]
	s_waitcnt lgkmcnt(0)
	s_barrier
	ds_read_b128 v[8:11], v42
	ds_read_b128 v[12:15], v42 offset:8192
	ds_read_b128 v[0:3], v42 offset:16384
	;; [unrolled: 1-line block ×7, first 2 shown]
	s_mul_i32 s1, s27, s2
	s_add_i32 s1, s0, s1
	s_mul_i32 s0, s26, s2
	s_lshl_b64 s[0:1], s[0:1], 1
	s_add_u32 s0, s22, s0
	s_addc_u32 s1, s23, s1
	s_mov_b32 s25, s24
	s_waitcnt lgkmcnt(6)
	v_pk_add_f32 v[34:35], v[10:11], v[14:15]
	v_pk_add_f32 v[38:39], v[8:9], v[12:13]
	s_waitcnt lgkmcnt(4)
	v_pk_add_f32 v[40:41], v[2:3], v[6:7]
	v_pk_add_f32 v[44:45], v[0:1], v[4:5]
	;; [unrolled: 3-line block ×4, first 2 shown]
	s_and_saveexec_b64 s[2:3], s[20:21]
	s_cbranch_execz .LBB36_10
; %bb.9:
	v_pk_add_f32 v[54:55], v[38:39], v[44:45]
	v_pk_add_f32 v[52:53], v[34:35], v[40:41]
	s_mov_b32 s6, s24
	s_mov_b32 s7, s24
	v_pk_mul_f32 v[56:57], s[24:25], v[54:55]
	v_pk_add_f32 v[54:55], v[32:33], v[42:43]
	v_pk_add_f32 v[58:59], v[36:37], v[46:47]
	v_pk_mul_f32 v[52:53], s[6:7], v[52:53]
	v_pk_mul_f32 v[54:55], s[6:7], v[54:55]
	;; [unrolled: 1-line block ×3, first 2 shown]
	v_cvt_pk_bf16_f32 v55, v54, v55
	v_cvt_pk_bf16_f32 v53, v52, v53
	;; [unrolled: 1-line block ×4, first 2 shown]
	global_store_dwordx4 v50, v[52:55], s[0:1]
.LBB36_10:
	s_or_b64 exec, exec, s[2:3]
	v_sub_f32_e32 v11, v11, v15
	v_sub_f32_e32 v10, v10, v14
	;; [unrolled: 1-line block ×16, first 2 shown]
	s_and_saveexec_b64 s[2:3], vcc
	s_cbranch_execnz .LBB36_14
; %bb.11:
	s_or_b64 exec, exec, s[2:3]
	s_and_saveexec_b64 s[2:3], s[18:19]
	s_cbranch_execnz .LBB36_15
.LBB36_12:
	s_or_b64 exec, exec, s[2:3]
	s_and_saveexec_b64 s[2:3], s[4:5]
	s_cbranch_execnz .LBB36_16
.LBB36_13:
	s_endpgm
.LBB36_14:
	v_pk_add_f32 v[18:19], v[8:9], v[14:15]
	v_pk_add_f32 v[16:17], v[10:11], v[6:7]
	s_mov_b32 s6, s24
	s_mov_b32 s7, s24
	v_pk_mul_f32 v[20:21], s[24:25], v[18:19]
	v_pk_add_f32 v[18:19], v[0:1], v[4:5]
	v_pk_add_f32 v[22:23], v[2:3], v[12:13]
	v_pk_mul_f32 v[16:17], s[6:7], v[16:17]
	v_pk_mul_f32 v[18:19], s[6:7], v[18:19]
	;; [unrolled: 1-line block ×3, first 2 shown]
	v_cvt_pk_bf16_f32 v19, v18, v19
	v_cvt_pk_bf16_f32 v17, v16, v17
	;; [unrolled: 1-line block ×4, first 2 shown]
	global_store_dwordx4 v48, v[16:19], s[0:1]
	s_or_b64 exec, exec, s[2:3]
	s_and_saveexec_b64 s[2:3], s[18:19]
	s_cbranch_execz .LBB36_12
.LBB36_15:
	v_sub_f32_e32 v17, v39, v45
	v_sub_f32_e32 v16, v38, v44
	v_sub_f32_e32 v19, v35, v41
	v_sub_f32_e32 v18, v34, v40
	s_mov_b32 s6, s24
	s_mov_b32 s7, s24
	v_pk_mul_f32 v[20:21], s[6:7], v[18:19]
	v_pk_mul_f32 v[22:23], s[24:25], v[16:17]
	v_sub_f32_e32 v17, v37, v47
	v_sub_f32_e32 v16, v36, v46
	;; [unrolled: 1-line block ×4, first 2 shown]
	v_pk_mul_f32 v[18:19], s[6:7], v[18:19]
	v_pk_mul_f32 v[16:17], s[24:25], v[16:17]
	v_cvt_pk_bf16_f32 v19, v18, v19
	v_cvt_pk_bf16_f32 v18, v16, v17
	;; [unrolled: 1-line block ×4, first 2 shown]
	global_store_dwordx4 v49, v[16:19], s[0:1]
	s_or_b64 exec, exec, s[2:3]
	s_and_saveexec_b64 s[2:3], s[4:5]
	s_cbranch_execz .LBB36_13
.LBB36_16:
	v_sub_f32_e32 v9, v9, v15
	v_sub_f32_e32 v8, v8, v14
	v_sub_f32_e32 v7, v11, v7
	v_sub_f32_e32 v6, v10, v6
	s_mov_b32 s2, s24
	s_mov_b32 s3, s24
	v_sub_f32_e32 v3, v3, v13
	v_sub_f32_e32 v2, v2, v12
	;; [unrolled: 1-line block ×4, first 2 shown]
	v_pk_mul_f32 v[6:7], s[2:3], v[6:7]
	v_pk_mul_f32 v[8:9], s[24:25], v[8:9]
	;; [unrolled: 1-line block ×4, first 2 shown]
	v_cvt_pk_bf16_f32 v3, v0, v1
	v_cvt_pk_bf16_f32 v2, v4, v5
	;; [unrolled: 1-line block ×4, first 2 shown]
	global_store_dwordx4 v51, v[0:3], s[0:1]
	s_endpgm
	.section	.rodata,"a",@progbits
	.p2align	6, 0x0
	.amdhsa_kernel _Z30fast_hadamard_transform_kernelI37fast_hadamard_transform_kernel_traitsILi256ELi13E14__hip_bfloat16EEv18HadamardParamsBase
		.amdhsa_group_segment_fixed_size 0
		.amdhsa_private_segment_fixed_size 0
		.amdhsa_kernarg_size 312
		.amdhsa_user_sgpr_count 2
		.amdhsa_user_sgpr_dispatch_ptr 0
		.amdhsa_user_sgpr_queue_ptr 0
		.amdhsa_user_sgpr_kernarg_segment_ptr 1
		.amdhsa_user_sgpr_dispatch_id 0
		.amdhsa_user_sgpr_kernarg_preload_length 0
		.amdhsa_user_sgpr_kernarg_preload_offset 0
		.amdhsa_user_sgpr_private_segment_size 0
		.amdhsa_uses_dynamic_stack 0
		.amdhsa_enable_private_segment 0
		.amdhsa_system_sgpr_workgroup_id_x 1
		.amdhsa_system_sgpr_workgroup_id_y 0
		.amdhsa_system_sgpr_workgroup_id_z 0
		.amdhsa_system_sgpr_workgroup_info 0
		.amdhsa_system_vgpr_workitem_id 0
		.amdhsa_next_free_vgpr 73
		.amdhsa_next_free_sgpr 28
		.amdhsa_accum_offset 76
		.amdhsa_reserve_vcc 1
		.amdhsa_float_round_mode_32 0
		.amdhsa_float_round_mode_16_64 0
		.amdhsa_float_denorm_mode_32 3
		.amdhsa_float_denorm_mode_16_64 3
		.amdhsa_dx10_clamp 1
		.amdhsa_ieee_mode 1
		.amdhsa_fp16_overflow 0
		.amdhsa_tg_split 0
		.amdhsa_exception_fp_ieee_invalid_op 0
		.amdhsa_exception_fp_denorm_src 0
		.amdhsa_exception_fp_ieee_div_zero 0
		.amdhsa_exception_fp_ieee_overflow 0
		.amdhsa_exception_fp_ieee_underflow 0
		.amdhsa_exception_fp_ieee_inexact 0
		.amdhsa_exception_int_div_zero 0
	.end_amdhsa_kernel
	.section	.text._Z30fast_hadamard_transform_kernelI37fast_hadamard_transform_kernel_traitsILi256ELi13E14__hip_bfloat16EEv18HadamardParamsBase,"axG",@progbits,_Z30fast_hadamard_transform_kernelI37fast_hadamard_transform_kernel_traitsILi256ELi13E14__hip_bfloat16EEv18HadamardParamsBase,comdat
.Lfunc_end36:
	.size	_Z30fast_hadamard_transform_kernelI37fast_hadamard_transform_kernel_traitsILi256ELi13E14__hip_bfloat16EEv18HadamardParamsBase, .Lfunc_end36-_Z30fast_hadamard_transform_kernelI37fast_hadamard_transform_kernel_traitsILi256ELi13E14__hip_bfloat16EEv18HadamardParamsBase
                                        ; -- End function
	.set _Z30fast_hadamard_transform_kernelI37fast_hadamard_transform_kernel_traitsILi256ELi13E14__hip_bfloat16EEv18HadamardParamsBase.num_vgpr, 73
	.set _Z30fast_hadamard_transform_kernelI37fast_hadamard_transform_kernel_traitsILi256ELi13E14__hip_bfloat16EEv18HadamardParamsBase.num_agpr, 0
	.set _Z30fast_hadamard_transform_kernelI37fast_hadamard_transform_kernel_traitsILi256ELi13E14__hip_bfloat16EEv18HadamardParamsBase.numbered_sgpr, 28
	.set _Z30fast_hadamard_transform_kernelI37fast_hadamard_transform_kernel_traitsILi256ELi13E14__hip_bfloat16EEv18HadamardParamsBase.num_named_barrier, 0
	.set _Z30fast_hadamard_transform_kernelI37fast_hadamard_transform_kernel_traitsILi256ELi13E14__hip_bfloat16EEv18HadamardParamsBase.private_seg_size, 0
	.set _Z30fast_hadamard_transform_kernelI37fast_hadamard_transform_kernel_traitsILi256ELi13E14__hip_bfloat16EEv18HadamardParamsBase.uses_vcc, 1
	.set _Z30fast_hadamard_transform_kernelI37fast_hadamard_transform_kernel_traitsILi256ELi13E14__hip_bfloat16EEv18HadamardParamsBase.uses_flat_scratch, 0
	.set _Z30fast_hadamard_transform_kernelI37fast_hadamard_transform_kernel_traitsILi256ELi13E14__hip_bfloat16EEv18HadamardParamsBase.has_dyn_sized_stack, 0
	.set _Z30fast_hadamard_transform_kernelI37fast_hadamard_transform_kernel_traitsILi256ELi13E14__hip_bfloat16EEv18HadamardParamsBase.has_recursion, 0
	.set _Z30fast_hadamard_transform_kernelI37fast_hadamard_transform_kernel_traitsILi256ELi13E14__hip_bfloat16EEv18HadamardParamsBase.has_indirect_call, 0
	.section	.AMDGPU.csdata,"",@progbits
; Kernel info:
; codeLenInByte = 7912
; TotalNumSgprs: 34
; NumVgprs: 73
; NumAgprs: 0
; TotalNumVgprs: 73
; ScratchSize: 0
; MemoryBound: 0
; FloatMode: 240
; IeeeMode: 1
; LDSByteSize: 0 bytes/workgroup (compile time only)
; SGPRBlocks: 4
; VGPRBlocks: 9
; NumSGPRsForWavesPerEU: 34
; NumVGPRsForWavesPerEU: 73
; AccumOffset: 76
; Occupancy: 6
; WaveLimiterHint : 0
; COMPUTE_PGM_RSRC2:SCRATCH_EN: 0
; COMPUTE_PGM_RSRC2:USER_SGPR: 2
; COMPUTE_PGM_RSRC2:TRAP_HANDLER: 0
; COMPUTE_PGM_RSRC2:TGID_X_EN: 1
; COMPUTE_PGM_RSRC2:TGID_Y_EN: 0
; COMPUTE_PGM_RSRC2:TGID_Z_EN: 0
; COMPUTE_PGM_RSRC2:TIDIG_COMP_CNT: 0
; COMPUTE_PGM_RSRC3_GFX90A:ACCUM_OFFSET: 18
; COMPUTE_PGM_RSRC3_GFX90A:TG_SPLIT: 0
	.section	.text._Z30fast_hadamard_transform_kernelI37fast_hadamard_transform_kernel_traitsILi256ELi14E14__hip_bfloat16EEv18HadamardParamsBase,"axG",@progbits,_Z30fast_hadamard_transform_kernelI37fast_hadamard_transform_kernel_traitsILi256ELi14E14__hip_bfloat16EEv18HadamardParamsBase,comdat
	.protected	_Z30fast_hadamard_transform_kernelI37fast_hadamard_transform_kernel_traitsILi256ELi14E14__hip_bfloat16EEv18HadamardParamsBase ; -- Begin function _Z30fast_hadamard_transform_kernelI37fast_hadamard_transform_kernel_traitsILi256ELi14E14__hip_bfloat16EEv18HadamardParamsBase
	.globl	_Z30fast_hadamard_transform_kernelI37fast_hadamard_transform_kernel_traitsILi256ELi14E14__hip_bfloat16EEv18HadamardParamsBase
	.p2align	8
	.type	_Z30fast_hadamard_transform_kernelI37fast_hadamard_transform_kernel_traitsILi256ELi14E14__hip_bfloat16EEv18HadamardParamsBase,@function
_Z30fast_hadamard_transform_kernelI37fast_hadamard_transform_kernel_traitsILi256ELi14E14__hip_bfloat16EEv18HadamardParamsBase: ; @_Z30fast_hadamard_transform_kernelI37fast_hadamard_transform_kernel_traitsILi256ELi14E14__hip_bfloat16EEv18HadamardParamsBase
; %bb.0:
	s_load_dwordx4 s[36:39], s[0:1], 0x10
	s_load_dword s16, s[0:1], 0x4
	s_load_dwordx4 s[28:31], s[0:1], 0x28
	s_ashr_i32 s3, s2, 31
	s_load_dword s6, s[0:1], 0x44
	s_waitcnt lgkmcnt(0)
	s_mul_hi_u32 s4, s36, s2
	s_mul_i32 s5, s36, s3
	s_add_i32 s4, s4, s5
	s_mul_i32 s5, s37, s2
	s_add_i32 s5, s4, s5
	s_mul_i32 s4, s36, s2
	s_lshl_b64 s[4:5], s[4:5], 1
	s_add_u32 s14, s28, s4
	v_lshlrev_b32_e32 v1, 3, v0
	s_addc_u32 s15, s29, s5
	v_cmp_gt_u32_e64 s[12:13], s16, v1
	v_mov_b32_e32 v1, 0
	v_lshlrev_b32_e32 v112, 4, v0
	v_mov_b32_e32 v8, 0
	v_mov_b32_e32 v9, 0
	;; [unrolled: 1-line block ×8, first 2 shown]
	s_and_saveexec_b64 s[4:5], s[12:13]
	s_cbranch_execz .LBB37_2
; %bb.1:
	global_load_dwordx4 v[2:5], v112, s[14:15]
	s_waitcnt vmcnt(0)
	v_lshlrev_b32_e32 v8, 16, v2
	v_lshlrev_b32_e32 v9, 16, v3
	v_and_b32_e32 v14, 0xffff0000, v2
	v_and_b32_e32 v15, 0xffff0000, v3
	v_lshlrev_b32_e32 v10, 16, v4
	v_lshlrev_b32_e32 v11, 16, v5
	v_and_b32_e32 v12, 0xffff0000, v4
	v_and_b32_e32 v13, 0xffff0000, v5
.LBB37_2:
	s_or_b64 exec, exec, s[4:5]
	s_and_b32 s17, 0xffff, s6
	v_add_u32_e32 v2, s17, v0
	v_lshlrev_b32_e32 v3, 3, v2
	v_cmp_gt_u32_e64 s[8:9], s16, v3
	v_lshlrev_b32_e32 v122, 4, v2
	v_mov_b32_e32 v47, 0
	v_mov_b32_e32 v46, 0
	;; [unrolled: 1-line block ×7, first 2 shown]
	s_and_saveexec_b64 s[4:5], s[8:9]
	s_cbranch_execz .LBB37_4
; %bb.3:
	global_load_dwordx4 v[4:7], v122, s[14:15]
	s_waitcnt vmcnt(0)
	v_lshlrev_b32_e32 v50, 16, v4
	v_and_b32_e32 v52, 0xffff0000, v4
	v_lshlrev_b32_e32 v48, 16, v5
	v_and_b32_e32 v51, 0xffff0000, v5
	;; [unrolled: 2-line block ×4, first 2 shown]
.LBB37_4:
	s_or_b64 exec, exec, s[4:5]
	v_add_u32_e32 v2, s17, v2
	v_lshlrev_b32_e32 v3, 3, v2
	v_cmp_gt_u32_e64 s[28:29], s16, v3
	v_mov_b32_e32 v53, 0
	v_lshlrev_b32_e32 v119, 4, v2
	v_mov_b32_e32 v54, 0
	v_mov_b32_e32 v56, 0
	;; [unrolled: 1-line block ×8, first 2 shown]
	s_and_saveexec_b64 s[4:5], s[28:29]
	s_cbranch_execz .LBB37_6
; %bb.5:
	global_load_dwordx4 v[4:7], v119, s[14:15]
	s_waitcnt vmcnt(0)
	v_lshlrev_b32_e32 v59, 16, v4
	v_and_b32_e32 v61, 0xffff0000, v4
	v_lshlrev_b32_e32 v57, 16, v5
	v_and_b32_e32 v60, 0xffff0000, v5
	;; [unrolled: 2-line block ×4, first 2 shown]
.LBB37_6:
	s_or_b64 exec, exec, s[4:5]
	v_add_u32_e32 v2, s17, v2
	v_lshlrev_b32_e32 v3, 3, v2
	v_cmp_gt_u32_e32 vcc, s16, v3
	v_lshlrev_b32_e32 v116, 4, v2
	v_mov_b32_e32 v63, 0
	v_mov_b32_e32 v62, 0
	v_mov_b32_e32 v65, 0
	v_mov_b32_e32 v64, 0
	v_mov_b32_e32 v71, 0
	v_mov_b32_e32 v68, 0
	v_mov_b32_e32 v74, 0
	s_and_saveexec_b64 s[4:5], vcc
	s_cbranch_execz .LBB37_8
; %bb.7:
	global_load_dwordx4 v[4:7], v116, s[14:15]
	s_waitcnt vmcnt(0)
	v_lshlrev_b32_e32 v68, 16, v4
	v_and_b32_e32 v74, 0xffff0000, v4
	v_lshlrev_b32_e32 v64, 16, v5
	v_and_b32_e32 v71, 0xffff0000, v5
	;; [unrolled: 2-line block ×4, first 2 shown]
.LBB37_8:
	s_or_b64 exec, exec, s[4:5]
	v_add_u32_e32 v2, s17, v2
	v_lshlrev_b32_e32 v3, 3, v2
	v_cmp_gt_u32_e64 s[26:27], s16, v3
	v_mov_b32_e32 v16, 0
	v_lshlrev_b32_e32 v117, 4, v2
	v_mov_b32_e32 v18, 0
	v_mov_b32_e32 v19, 0
	;; [unrolled: 1-line block ×8, first 2 shown]
	s_and_saveexec_b64 s[4:5], s[26:27]
	s_cbranch_execz .LBB37_10
; %bb.9:
	global_load_dwordx4 v[4:7], v117, s[14:15]
	s_waitcnt vmcnt(0)
	v_lshlrev_b32_e32 v18, 16, v4
	v_lshlrev_b32_e32 v19, 16, v5
	v_and_b32_e32 v20, 0xffff0000, v4
	v_and_b32_e32 v21, 0xffff0000, v5
	v_lshlrev_b32_e32 v24, 16, v6
	v_lshlrev_b32_e32 v25, 16, v7
	v_and_b32_e32 v26, 0xffff0000, v6
	v_and_b32_e32 v27, 0xffff0000, v7
.LBB37_10:
	s_or_b64 exec, exec, s[4:5]
	v_add_u32_e32 v2, s17, v2
	v_lshlrev_b32_e32 v3, 3, v2
	v_cmp_gt_u32_e64 s[4:5], s16, v3
	v_lshlrev_b32_e32 v118, 4, v2
	v_mov_b32_e32 v17, 0
	v_mov_b32_e32 v28, 0
	;; [unrolled: 1-line block ×7, first 2 shown]
	s_and_saveexec_b64 s[6:7], s[4:5]
	s_cbranch_execz .LBB37_12
; %bb.11:
	global_load_dwordx4 v[4:7], v118, s[14:15]
	s_waitcnt vmcnt(0)
	v_lshlrev_b32_e32 v16, 16, v4
	v_lshlrev_b32_e32 v17, 16, v5
	v_and_b32_e32 v28, 0xffff0000, v4
	v_and_b32_e32 v29, 0xffff0000, v5
	v_lshlrev_b32_e32 v30, 16, v6
	v_lshlrev_b32_e32 v31, 16, v7
	v_and_b32_e32 v32, 0xffff0000, v6
	v_and_b32_e32 v33, 0xffff0000, v7
.LBB37_12:
	s_or_b64 exec, exec, s[6:7]
	v_add_u32_e32 v2, s17, v2
	v_lshlrev_b32_e32 v3, 3, v2
	v_cmp_gt_u32_e64 s[6:7], s16, v3
	v_mov_b32_e32 v75, 0
	v_lshlrev_b32_e32 v120, 4, v2
	v_mov_b32_e32 v38, 0
	v_mov_b32_e32 v39, 0
	;; [unrolled: 1-line block ×8, first 2 shown]
	s_and_saveexec_b64 s[10:11], s[6:7]
	s_cbranch_execz .LBB37_14
; %bb.13:
	global_load_dwordx4 v[4:7], v120, s[14:15]
	s_waitcnt vmcnt(0)
	v_lshlrev_b32_e32 v38, 16, v4
	v_lshlrev_b32_e32 v39, 16, v5
	v_and_b32_e32 v40, 0xffff0000, v4
	v_and_b32_e32 v41, 0xffff0000, v5
	v_lshlrev_b32_e32 v34, 16, v6
	v_lshlrev_b32_e32 v35, 16, v7
	v_and_b32_e32 v36, 0xffff0000, v6
	v_and_b32_e32 v37, 0xffff0000, v7
.LBB37_14:
	s_or_b64 exec, exec, s[10:11]
	s_load_dword s34, s[0:1], 0x20
	v_add_u32_e32 v2, s17, v2
	v_lshlrev_b32_e32 v3, 3, v2
	v_cmp_gt_u32_e64 s[10:11], s16, v3
	v_lshlrev_b32_e32 v121, 4, v2
	v_mov_b32_e32 v77, 0
	v_mov_b32_e32 v76, 0
	;; [unrolled: 1-line block ×7, first 2 shown]
	s_and_saveexec_b64 s[0:1], s[10:11]
	s_cbranch_execz .LBB37_16
; %bb.15:
	global_load_dwordx4 v[2:5], v121, s[14:15]
	s_waitcnt vmcnt(0)
	v_lshlrev_b32_e32 v42, 16, v2
	v_and_b32_e32 v44, 0xffff0000, v2
	v_lshlrev_b32_e32 v43, 16, v3
	v_and_b32_e32 v45, 0xffff0000, v3
	;; [unrolled: 2-line block ×4, first 2 shown]
.LBB37_16:
	s_or_b64 exec, exec, s[0:1]
	v_pk_add_f32 v[66:67], v[8:9], v[14:15] neg_lo:[0,1] neg_hi:[0,1]
	v_pk_add_f32 v[6:7], v[18:19], v[20:21] neg_lo:[0,1] neg_hi:[0,1]
	;; [unrolled: 1-line block ×4, first 2 shown]
	v_pk_add_f32 v[72:73], v[14:15], v[8:9]
	v_pk_add_f32 v[22:23], v[20:21], v[18:19]
	;; [unrolled: 1-line block ×5, first 2 shown]
	v_pk_add_f32 v[8:9], v[42:43], v[44:45] neg_lo:[0,1] neg_hi:[0,1]
	v_pk_add_f32 v[40:41], v[12:13], v[10:11]
	v_pk_add_f32 v[42:43], v[10:11], v[12:13] neg_lo:[0,1] neg_hi:[0,1]
	v_pk_add_f32 v[28:29], v[26:27], v[24:25]
	v_pk_add_f32 v[14:15], v[24:25], v[26:27] neg_lo:[0,1] neg_hi:[0,1]
	v_pk_add_f32 v[26:27], v[32:33], v[30:31]
	v_pk_add_f32 v[12:13], v[30:31], v[32:33] neg_lo:[0,1] neg_hi:[0,1]
	v_mbcnt_lo_u32_b32 v32, -1, 0
	v_mbcnt_hi_u32_b32 v32, -1, v32
	v_and_b32_e32 v33, 64, v32
	v_pk_add_f32 v[24:25], v[36:37], v[34:35]
	v_pk_add_f32 v[10:11], v[34:35], v[36:37] neg_lo:[0,1] neg_hi:[0,1]
	v_add_u32_e32 v33, 64, v33
	v_xor_b32_e32 v37, 1, v32
	v_cmp_lt_i32_e64 s[0:1], v37, v33
	v_add_f32_e32 v30, v40, v41
	v_add_f32_e32 v31, v73, v72
	v_cndmask_b32_e64 v37, v32, v37, s[0:1]
	v_add_f32_e32 v34, v31, v30
	v_add_f32_e32 v38, v42, v43
	v_add_f32_e32 v39, v67, v66
	v_sub_f32_e32 v42, v42, v43
	v_sub_f32_e32 v43, v66, v67
	v_lshlrev_b32_e32 v66, 2, v37
	ds_bpermute_b32 v37, v66, v34
	v_and_b32_e32 v44, 1, v0
	v_sub_f32_e32 v30, v31, v30
	v_add_f32_e32 v31, v39, v38
	v_sub_f32_e32 v40, v40, v41
	v_sub_f32_e32 v41, v72, v73
	v_cmp_eq_u32_e64 s[14:15], 0, v44
	v_add_f32_e32 v35, v41, v40
	ds_bpermute_b32 v45, v66, v31
	v_cndmask_b32_e64 v34, -v34, v34, s[14:15]
	s_waitcnt lgkmcnt(0)
	v_add_f32_e32 v34, v34, v37
	ds_bpermute_b32 v37, v66, v35
	v_cndmask_b32_e64 v31, -v31, v31, s[14:15]
	v_add_f32_e32 v31, v31, v45
	v_cndmask_b32_e64 v35, -v35, v35, s[14:15]
	ds_bpermute_b32 v45, v66, v30
	v_add_f32_e32 v36, v43, v42
	s_waitcnt lgkmcnt(1)
	v_add_f32_e32 v35, v35, v37
	v_xor_b32_e32 v37, 2, v32
	ds_bpermute_b32 v44, v66, v36
	v_cmp_lt_i32_e64 s[0:1], v37, v33
	v_cndmask_b32_e64 v30, -v30, v30, s[14:15]
	s_waitcnt lgkmcnt(1)
	v_add_f32_e32 v30, v30, v45
	v_cndmask_b32_e64 v37, v32, v37, s[0:1]
	v_lshlrev_b32_e32 v67, 2, v37
	ds_bpermute_b32 v37, v67, v34
	ds_bpermute_b32 v45, v67, v31
	v_cndmask_b32_e64 v36, -v36, v36, s[14:15]
	s_waitcnt lgkmcnt(2)
	v_add_f32_e32 v36, v36, v44
	v_and_b32_e32 v44, 2, v0
	v_cmp_eq_u32_e64 s[16:17], 0, v44
	v_add_f32_e32 v85, v49, v46
	v_add_f32_e32 v86, v47, v1
	v_cndmask_b32_e64 v34, -v34, v34, s[16:17]
	v_cndmask_b32_e64 v31, -v31, v31, s[16:17]
	s_waitcnt lgkmcnt(1)
	v_add_f32_e32 v44, v34, v37
	ds_bpermute_b32 v34, v67, v35
	s_waitcnt lgkmcnt(1)
	v_add_f32_e32 v37, v31, v45
	ds_bpermute_b32 v45, v67, v30
	ds_bpermute_b32 v31, v67, v36
	v_cndmask_b32_e64 v35, -v35, v35, s[16:17]
	v_cndmask_b32_e64 v30, -v30, v30, s[16:17]
	s_waitcnt lgkmcnt(2)
	v_add_f32_e32 v34, v35, v34
	v_cndmask_b32_e64 v35, -v36, v36, s[16:17]
	s_waitcnt lgkmcnt(1)
	v_add_f32_e32 v36, v30, v45
	v_xor_b32_e32 v30, 4, v32
	v_cmp_lt_i32_e64 s[0:1], v30, v33
	s_waitcnt lgkmcnt(0)
	v_add_f32_e32 v35, v35, v31
	v_and_b32_e32 v45, 4, v0
	v_cndmask_b32_e64 v30, v32, v30, s[0:1]
	v_lshlrev_b32_e32 v69, 2, v30
	ds_bpermute_b32 v30, v69, v34
	ds_bpermute_b32 v31, v69, v35
	v_cmp_eq_u32_e64 s[18:19], 0, v45
	v_add_f32_e32 v80, v86, v85
	v_add_f32_e32 v89, v61, v59
	v_cndmask_b32_e64 v45, -v36, v36, s[18:19]
	ds_bpermute_b32 v36, v69, v36
	v_cndmask_b32_e64 v35, -v35, v35, s[18:19]
	v_cndmask_b32_e64 v34, -v34, v34, s[18:19]
	s_waitcnt lgkmcnt(1)
	v_pk_add_f32 v[30:31], v[34:35], v[30:31]
	ds_bpermute_b32 v34, v69, v44
	ds_bpermute_b32 v35, v69, v37
	s_waitcnt lgkmcnt(2)
	v_add_f32_e32 v72, v45, v36
	v_cndmask_b32_e64 v36, -v44, v44, s[18:19]
	v_xor_b32_e32 v44, 8, v32
	v_cmp_lt_i32_e64 s[0:1], v44, v33
	v_cndmask_b32_e64 v37, -v37, v37, s[18:19]
	s_waitcnt lgkmcnt(0)
	v_pk_add_f32 v[34:35], v[36:37], v[34:35]
	v_cndmask_b32_e64 v44, v32, v44, s[0:1]
	v_lshlrev_b32_e32 v70, 2, v44
	ds_bpermute_b32 v36, v70, v34
	ds_bpermute_b32 v37, v70, v35
	v_and_b32_e32 v45, 8, v0
	v_cmp_eq_u32_e64 s[20:21], 0, v45
	ds_bpermute_b32 v44, v70, v30
	ds_bpermute_b32 v45, v70, v31
	v_cndmask_b32_e64 v73, -v72, v72, s[20:21]
	ds_bpermute_b32 v72, v70, v72
	v_cndmask_b32_e64 v35, -v35, v35, s[20:21]
	v_cndmask_b32_e64 v34, -v34, v34, s[20:21]
	s_waitcnt lgkmcnt(3)
	v_pk_add_f32 v[34:35], v[34:35], v[36:37]
	v_xor_b32_e32 v36, 16, v32
	v_cmp_lt_i32_e64 s[0:1], v36, v33
	v_cndmask_b32_e64 v31, -v31, v31, s[20:21]
	v_cndmask_b32_e64 v30, -v30, v30, s[20:21]
	v_cndmask_b32_e64 v36, v32, v36, s[0:1]
	s_waitcnt lgkmcnt(1)
	v_pk_add_f32 v[30:31], v[30:31], v[44:45]
	s_waitcnt lgkmcnt(0)
	v_add_f32_e32 v73, v73, v72
	v_and_b32_e32 v44, 16, v0
	v_lshlrev_b32_e32 v72, 2, v36
	v_cmp_eq_u32_e64 s[22:23], 0, v44
	ds_bpermute_b32 v44, v72, v30
	ds_bpermute_b32 v45, v72, v31
	v_cndmask_b32_e64 v79, -v73, v73, s[22:23]
	ds_bpermute_b32 v73, v72, v73
	ds_bpermute_b32 v36, v72, v34
	;; [unrolled: 1-line block ×3, first 2 shown]
	v_cndmask_b32_e64 v31, -v31, v31, s[22:23]
	v_cndmask_b32_e64 v30, -v30, v30, s[22:23]
	s_waitcnt lgkmcnt(3)
	v_pk_add_f32 v[44:45], v[30:31], v[44:45]
	v_xor_b32_e32 v30, 32, v32
	v_cmp_lt_i32_e64 s[0:1], v30, v33
	s_waitcnt lgkmcnt(2)
	v_add_f32_e32 v83, v79, v73
	v_and_b32_e32 v79, 32, v0
	v_cndmask_b32_e64 v30, v32, v30, s[0:1]
	v_cndmask_b32_e64 v35, -v35, v35, s[22:23]
	v_cndmask_b32_e64 v34, -v34, v34, s[22:23]
	v_lshlrev_b32_e32 v73, 2, v30
	v_cmp_eq_u32_e64 s[24:25], 0, v79
	s_waitcnt lgkmcnt(0)
	v_pk_add_f32 v[32:33], v[34:35], v[36:37]
	ds_bpermute_b32 v34, v73, v44
	ds_bpermute_b32 v35, v73, v45
	v_cndmask_b32_e64 v37, -v45, v45, s[24:25]
	v_cndmask_b32_e64 v36, -v44, v44, s[24:25]
	v_add_f32_e32 v44, v52, v50
	v_add_f32_e32 v45, v51, v48
	;; [unrolled: 1-line block ×7, first 2 shown]
	v_sub_f32_e32 v88, v79, v80
	v_add_f32_e32 v79, v90, v89
	v_add_f32_e32 v80, v92, v91
	;; [unrolled: 1-line block ×7, first 2 shown]
	v_sub_f32_e32 v94, v79, v80
	v_add_f32_e32 v79, v96, v95
	v_add_f32_e32 v80, v98, v97
	v_add_f32_e32 v99, v80, v79
	v_sub_f32_e32 v100, v79, v80
	v_add_f32_e32 v79, v23, v22
	v_add_f32_e32 v80, v29, v28
	v_add_f32_e32 v101, v80, v79
	;; [unrolled: 4-line block ×4, first 2 shown]
	v_add_f32_e32 v106, v77, v75
	v_sub_f32_e32 v50, v50, v52
	v_sub_f32_e32 v51, v48, v51
	;; [unrolled: 1-line block ×4, first 2 shown]
	v_add_f32_e32 v82, v80, v79
	v_sub_f32_e32 v81, v79, v80
	v_add_f32_e32 v79, v19, v18
	v_add_f32_e32 v107, v106, v105
	v_sub_f32_e32 v39, v39, v38
	v_add_f32_e32 v1, v51, v50
	v_add_f32_e32 v38, v47, v46
	v_sub_f32_e32 v59, v59, v61
	v_sub_f32_e32 v57, v57, v60
	;; [unrolled: 1-line block ×4, first 2 shown]
	v_add_f32_e32 v80, v107, v79
	v_sub_f32_e32 v79, v79, v107
	v_add_f32_e32 v52, v38, v1
	v_sub_f32_e32 v107, v1, v38
	v_add_f32_e32 v1, v57, v59
	v_add_f32_e32 v38, v54, v55
	v_sub_f32_e32 v60, v68, v74
	v_sub_f32_e32 v61, v64, v71
	;; [unrolled: 1-line block ×4, first 2 shown]
	v_add_f32_e32 v56, v38, v1
	v_sub_f32_e32 v58, v1, v38
	v_add_f32_e32 v1, v61, v60
	v_add_f32_e32 v38, v53, v62
	v_add_f32_e32 v63, v38, v1
	v_sub_f32_e32 v64, v1, v38
	v_add_f32_e32 v1, v7, v6
	v_add_f32_e32 v38, v15, v14
	;; [unrolled: 4-line block ×4, first 2 shown]
	v_sub_f32_e32 v68, v76, v78
	v_sub_f32_e32 v74, v75, v77
	v_add_f32_e32 v38, v48, v1
	v_sub_f32_e32 v49, v1, v48
	v_add_f32_e32 v1, v9, v8
	v_add_f32_e32 v71, v74, v68
	v_sub_f32_e32 v40, v41, v40
	v_sub_f32_e32 v41, v44, v45
	;; [unrolled: 1-line block ×3, first 2 shown]
	v_add_f32_e32 v48, v71, v1
	v_sub_f32_e32 v1, v1, v71
	v_add_f32_e32 v45, v44, v41
	v_sub_f32_e32 v41, v41, v44
	v_sub_f32_e32 v44, v89, v90
	;; [unrolled: 1-line block ×5, first 2 shown]
	v_add_f32_e32 v75, v71, v44
	v_sub_f32_e32 v44, v44, v71
	v_sub_f32_e32 v71, v95, v96
	v_sub_f32_e32 v76, v97, v98
	v_add_f32_e32 v25, v17, v16
	v_sub_f32_e32 v24, v16, v17
	v_sub_f32_e32 v17, v18, v19
	v_sub_f32_e32 v18, v105, v106
	v_add_f32_e32 v77, v76, v71
	v_sub_f32_e32 v76, v71, v76
	v_sub_f32_e32 v22, v22, v23
	v_sub_f32_e32 v23, v28, v29
	v_sub_f32_e32 v20, v20, v21
	v_sub_f32_e32 v21, v26, v27
	v_add_f32_e32 v16, v18, v17
	v_sub_f32_e32 v71, v17, v18
	v_sub_f32_e32 v17, v50, v51
	;; [unrolled: 1-line block ×3, first 2 shown]
	v_add_f32_e32 v78, v23, v22
	v_sub_f32_e32 v22, v22, v23
	v_add_f32_e32 v23, v21, v20
	v_sub_f32_e32 v20, v20, v21
	;; [unrolled: 2-line block ×3, first 2 shown]
	v_sub_f32_e32 v17, v59, v57
	v_sub_f32_e32 v18, v55, v54
	v_add_f32_e32 v28, v18, v17
	v_sub_f32_e32 v29, v17, v18
	v_sub_f32_e32 v17, v60, v61
	;; [unrolled: 1-line block ×8, first 2 shown]
	v_add_f32_e32 v42, v18, v17
	v_sub_f32_e32 v43, v17, v18
	v_add_f32_e32 v53, v5, v4
	v_sub_f32_e32 v57, v4, v5
	;; [unrolled: 2-line block ×3, first 2 shown]
	v_sub_f32_e32 v2, v8, v9
	v_sub_f32_e32 v3, v68, v74
	ds_bpermute_b32 v4, v66, v39
	v_add_f32_e32 v17, v3, v2
	v_sub_f32_e32 v74, v2, v3
	ds_bpermute_b32 v2, v66, v40
	v_cndmask_b32_e64 v3, -v39, v39, s[14:15]
	s_waitcnt lgkmcnt(1)
	v_add_f32_e32 v8, v3, v4
	ds_bpermute_b32 v3, v66, v19
	v_cndmask_b32_e64 v4, -v40, v40, s[14:15]
	s_waitcnt lgkmcnt(1)
	v_add_f32_e32 v9, v4, v2
	;; [unrolled: 4-line block ×23, first 2 shown]
	v_cndmask_b32_e64 v3, -v100, v100, s[14:15]
	ds_bpermute_b32 v4, v66, v64
	s_waitcnt lgkmcnt(1)
	v_add_f32_e32 v28, v3, v2
	ds_bpermute_b32 v2, v66, v76
	ds_bpermute_b32 v30, v73, v32
	;; [unrolled: 1-line block ×4, first 2 shown]
	v_cndmask_b32_e64 v3, -v64, v64, s[14:15]
	s_waitcnt lgkmcnt(4)
	v_add_f32_e32 v41, v3, v4
	v_cndmask_b32_e64 v3, -v76, v76, s[14:15]
	v_cndmask_b32_e64 v33, -v33, v33, s[24:25]
	;; [unrolled: 1-line block ×3, first 2 shown]
	s_waitcnt lgkmcnt(3)
	v_add_f32_e32 v29, v3, v2
	v_cndmask_b32_e64 v2, -v43, v43, s[14:15]
	s_waitcnt lgkmcnt(0)
	v_add_f32_e32 v19, v2, v5
	v_pk_add_f32 v[4:5], v[32:33], v[30:31]
	v_lshrrev_b32_e32 v30, 6, v0
	v_sub_f32_e32 v6, v6, v7
	v_sub_f32_e32 v7, v14, v15
	v_xor_b32_e32 v30, v30, v0
	v_add_f32_e32 v14, v7, v6
	v_sub_f32_e32 v15, v6, v7
	v_pk_add_f32 v[6:7], v[36:37], v[34:35]
	v_lshl_add_u32 v68, v30, 4, 0
	ds_bpermute_b32 v11, v67, v8
	s_waitcnt lgkmcnt(0)
	s_barrier
	ds_write_b128 v68, v[4:7]
	ds_bpermute_b32 v4, v67, v9
	v_cndmask_b32_e64 v5, -v8, v8, s[16:17]
	v_cndmask_b32_e64 v7, -v9, v9, s[16:17]
	v_add_f32_e32 v5, v5, v11
	ds_bpermute_b32 v6, v69, v5
	s_waitcnt lgkmcnt(1)
	v_add_f32_e32 v4, v7, v4
	ds_bpermute_b32 v7, v69, v4
	v_cndmask_b32_e64 v5, -v5, v5, s[18:19]
	v_cndmask_b32_e64 v4, -v4, v4, s[18:19]
	s_waitcnt lgkmcnt(1)
	v_add_f32_e32 v5, v5, v6
	ds_bpermute_b32 v6, v70, v5
	s_waitcnt lgkmcnt(1)
	v_add_f32_e32 v4, v4, v7
	ds_bpermute_b32 v7, v70, v4
	v_cndmask_b32_e64 v5, -v5, v5, s[20:21]
	v_cndmask_b32_e64 v4, -v4, v4, s[20:21]
	s_waitcnt lgkmcnt(1)
	v_add_f32_e32 v5, v5, v6
	ds_bpermute_b32 v6, v72, v5
	s_waitcnt lgkmcnt(1)
	v_add_f32_e32 v4, v4, v7
	ds_bpermute_b32 v7, v72, v4
	ds_bpermute_b32 v9, v67, v10
	v_cndmask_b32_e64 v5, -v5, v5, s[22:23]
	v_cndmask_b32_e64 v4, -v4, v4, s[22:23]
	s_waitcnt lgkmcnt(2)
	v_add_f32_e32 v5, v5, v6
	s_waitcnt lgkmcnt(1)
	v_add_f32_e32 v4, v4, v7
	v_cndmask_b32_e64 v7, -v10, v10, s[16:17]
	ds_bpermute_b32 v6, v73, v5
	s_waitcnt lgkmcnt(1)
	v_add_f32_e32 v7, v7, v9
	ds_bpermute_b32 v10, v69, v7
	v_cndmask_b32_e64 v5, -v5, v5, s[24:25]
	ds_bpermute_b32 v3, v66, v65
	s_waitcnt lgkmcnt(2)
	v_add_f32_e32 v9, v5, v6
	v_cndmask_b32_e64 v6, -v7, v7, s[18:19]
	s_waitcnt lgkmcnt(1)
	v_add_f32_e32 v6, v6, v10
	ds_bpermute_b32 v7, v70, v6
	v_cndmask_b32_e64 v6, -v6, v6, s[20:21]
	ds_bpermute_b32 v5, v73, v4
	v_cndmask_b32_e64 v4, -v4, v4, s[24:25]
	v_cndmask_b32_e64 v51, -v65, v65, s[14:15]
	s_waitcnt lgkmcnt(1)
	v_add_f32_e32 v6, v6, v7
	ds_bpermute_b32 v7, v72, v6
	s_waitcnt lgkmcnt(1)
	v_add_f32_e32 v10, v4, v5
	v_cndmask_b32_e64 v5, -v6, v6, s[22:23]
	ds_bpermute_b32 v8, v73, v83
	ds_bpermute_b32 v55, v66, v14
	s_waitcnt lgkmcnt(2)
	v_add_f32_e32 v11, v5, v7
	v_cndmask_b32_e64 v65, -v14, v14, s[14:15]
	ds_bpermute_b32 v14, v73, v11
	v_cndmask_b32_e64 v84, -v83, v83, s[24:25]
	v_cndmask_b32_e64 v11, -v11, v11, s[24:25]
	s_waitcnt lgkmcnt(2)
	v_add_f32_e32 v8, v84, v8
	ds_bpermute_b32 v47, v66, v15
	s_waitcnt lgkmcnt(1)
	v_add_f32_e32 v11, v11, v14
	ds_bpermute_b32 v14, v67, v12
	ds_write_b128 v68, v[8:11] offset:4096
	ds_bpermute_b32 v8, v67, v13
	ds_bpermute_b32 v10, v67, v39
	v_cndmask_b32_e64 v9, -v12, v12, s[16:17]
	s_waitcnt lgkmcnt(3)
	v_add_f32_e32 v9, v9, v14
	v_cndmask_b32_e64 v11, -v13, v13, s[16:17]
	s_waitcnt lgkmcnt(1)
	v_add_f32_e32 v8, v11, v8
	ds_bpermute_b32 v11, v69, v9
	v_cndmask_b32_e64 v12, -v39, v39, s[16:17]
	s_waitcnt lgkmcnt(1)
	v_add_f32_e32 v10, v12, v10
	ds_bpermute_b32 v12, v69, v8
	;; [unrolled: 4-line block ×8, first 2 shown]
	v_cndmask_b32_e64 v9, -v9, v9, s[22:23]
	s_waitcnt lgkmcnt(1)
	v_add_f32_e32 v9, v9, v11
	v_cndmask_b32_e64 v8, -v8, v8, s[22:23]
	ds_bpermute_b32 v14, v67, v21
	s_waitcnt lgkmcnt(1)
	v_add_f32_e32 v8, v8, v12
	ds_bpermute_b32 v12, v73, v9
	ds_bpermute_b32 v11, v72, v10
	v_cndmask_b32_e64 v9, -v9, v9, s[24:25]
	v_cndmask_b32_e64 v10, -v10, v10, s[22:23]
	ds_bpermute_b32 v13, v73, v8
	s_waitcnt lgkmcnt(2)
	v_add_f32_e32 v12, v9, v12
	v_cndmask_b32_e64 v9, -v21, v21, s[16:17]
	v_add_f32_e32 v9, v9, v14
	s_waitcnt lgkmcnt(1)
	v_add_f32_e32 v10, v10, v11
	ds_bpermute_b32 v11, v69, v9
	v_cndmask_b32_e64 v9, -v9, v9, s[18:19]
	v_cndmask_b32_e64 v8, -v8, v8, s[24:25]
	;; [unrolled: 1-line block ×3, first 2 shown]
	s_waitcnt lgkmcnt(1)
	v_add_f32_e32 v13, v8, v13
	s_waitcnt lgkmcnt(0)
	v_add_f32_e32 v9, v9, v11
	ds_bpermute_b32 v11, v70, v9
	v_cndmask_b32_e64 v9, -v9, v9, s[20:21]
	ds_bpermute_b32 v8, v73, v10
	v_cndmask_b32_e64 v10, -v10, v10, s[24:25]
	ds_bpermute_b32 v31, v67, v59
	s_waitcnt lgkmcnt(2)
	v_add_f32_e32 v9, v9, v11
	ds_bpermute_b32 v11, v72, v9
	v_cndmask_b32_e64 v9, -v9, v9, s[22:23]
	s_waitcnt lgkmcnt(2)
	v_add_f32_e32 v14, v10, v8
	ds_bpermute_b32 v46, v66, v22
	v_cndmask_b32_e64 v62, -v22, v22, s[14:15]
	;; [unrolled: 4-line block ×3, first 2 shown]
	ds_bpermute_b32 v44, v66, v23
	v_cndmask_b32_e64 v60, -v23, v23, s[14:15]
	v_cndmask_b32_e64 v23, -v85, v85, s[16:17]
	s_waitcnt lgkmcnt(1)
	v_add_f32_e32 v15, v15, v21
	ds_bpermute_b32 v21, v67, v40
	ds_write_b128 v68, v[12:15] offset:8192
	ds_bpermute_b32 v12, v67, v45
	ds_bpermute_b32 v14, v67, v52
	v_cndmask_b32_e64 v13, -v40, v40, s[16:17]
	s_waitcnt lgkmcnt(3)
	v_add_f32_e32 v13, v13, v21
	v_cndmask_b32_e64 v15, -v45, v45, s[16:17]
	s_waitcnt lgkmcnt(1)
	v_add_f32_e32 v12, v15, v12
	ds_bpermute_b32 v15, v69, v13
	v_cndmask_b32_e64 v21, -v52, v52, s[16:17]
	s_waitcnt lgkmcnt(1)
	v_add_f32_e32 v14, v21, v14
	ds_bpermute_b32 v21, v69, v12
	;; [unrolled: 4-line block ×8, first 2 shown]
	v_cndmask_b32_e64 v13, -v13, v13, s[22:23]
	s_waitcnt lgkmcnt(1)
	v_add_f32_e32 v13, v13, v15
	v_cndmask_b32_e64 v12, -v12, v12, s[22:23]
	ds_bpermute_b32 v15, v72, v14
	s_waitcnt lgkmcnt(1)
	v_add_f32_e32 v12, v12, v21
	ds_bpermute_b32 v21, v73, v13
	v_cndmask_b32_e64 v13, -v13, v13, s[24:25]
	v_cndmask_b32_e64 v14, -v14, v14, s[22:23]
	s_waitcnt lgkmcnt(1)
	v_add_f32_e32 v14, v14, v15
	ds_bpermute_b32 v22, v73, v12
	s_waitcnt lgkmcnt(1)
	v_add_f32_e32 v30, v13, v21
	v_cndmask_b32_e64 v13, -v59, v59, s[16:17]
	v_add_f32_e32 v13, v13, v31
	ds_bpermute_b32 v15, v69, v13
	v_cndmask_b32_e64 v13, -v13, v13, s[18:19]
	v_cndmask_b32_e64 v12, -v12, v12, s[24:25]
	s_waitcnt lgkmcnt(1)
	v_add_f32_e32 v31, v12, v22
	ds_bpermute_b32 v12, v73, v14
	s_waitcnt lgkmcnt(1)
	v_add_f32_e32 v13, v13, v15
	ds_bpermute_b32 v15, v70, v13
	v_cndmask_b32_e64 v13, -v13, v13, s[20:21]
	v_cndmask_b32_e64 v14, -v14, v14, s[24:25]
	s_waitcnt lgkmcnt(1)
	v_add_f32_e32 v32, v14, v12
	ds_bpermute_b32 v42, v66, v20
	s_waitcnt lgkmcnt(1)
	v_add_f32_e32 v13, v13, v15
	ds_bpermute_b32 v15, v72, v13
	v_cndmask_b32_e64 v13, -v13, v13, s[22:23]
	v_cndmask_b32_e64 v58, -v20, v20, s[14:15]
	ds_bpermute_b32 v36, v67, v90
	ds_bpermute_b32 v43, v66, v57
	s_waitcnt lgkmcnt(2)
	v_add_f32_e32 v21, v13, v15
	ds_bpermute_b32 v22, v73, v21
	v_cndmask_b32_e64 v21, -v21, v21, s[24:25]
	v_cndmask_b32_e64 v59, -v57, v57, s[14:15]
	ds_bpermute_b32 v39, v66, v26
	v_cndmask_b32_e64 v57, -v26, v26, s[14:15]
	s_waitcnt lgkmcnt(1)
	v_add_f32_e32 v33, v21, v22
	ds_bpermute_b32 v21, v67, v85
	ds_bpermute_b32 v22, v67, v56
	ds_write_b128 v68, v[30:33] offset:12288
	v_cndmask_b32_e64 v30, -v56, v56, s[16:17]
	v_cndmask_b32_e64 v31, -v75, v75, s[16:17]
	s_waitcnt lgkmcnt(2)
	v_add_f32_e32 v21, v23, v21
	ds_bpermute_b32 v23, v67, v75
	s_waitcnt lgkmcnt(2)
	v_add_f32_e32 v22, v30, v22
	ds_bpermute_b32 v30, v69, v21
	v_cndmask_b32_e64 v21, -v21, v21, s[18:19]
	ds_bpermute_b32 v33, v67, v86
	s_waitcnt lgkmcnt(2)
	v_add_f32_e32 v23, v31, v23
	ds_bpermute_b32 v31, v69, v22
	s_waitcnt lgkmcnt(2)
	v_add_f32_e32 v21, v21, v30
	ds_bpermute_b32 v30, v69, v23
	v_cndmask_b32_e64 v22, -v22, v22, s[18:19]
	v_cndmask_b32_e64 v23, -v23, v23, s[18:19]
	s_waitcnt lgkmcnt(1)
	v_add_f32_e32 v22, v22, v31
	ds_bpermute_b32 v31, v70, v21
	s_waitcnt lgkmcnt(1)
	v_add_f32_e32 v23, v23, v30
	ds_bpermute_b32 v30, v70, v22
	v_cndmask_b32_e64 v21, -v21, v21, s[20:21]
	v_cndmask_b32_e64 v22, -v22, v22, s[20:21]
	;; [unrolled: 8-line block ×3, first 2 shown]
	s_waitcnt lgkmcnt(1)
	v_add_f32_e32 v23, v23, v31
	ds_bpermute_b32 v31, v72, v22
	s_waitcnt lgkmcnt(1)
	v_add_f32_e32 v21, v21, v30
	v_cndmask_b32_e64 v22, -v22, v22, s[22:23]
	ds_bpermute_b32 v30, v72, v23
	v_cndmask_b32_e64 v23, -v23, v23, s[22:23]
	s_waitcnt lgkmcnt(1)
	v_add_f32_e32 v22, v22, v31
	ds_bpermute_b32 v31, v73, v21
	v_cndmask_b32_e64 v21, -v21, v21, s[24:25]
	s_waitcnt lgkmcnt(1)
	v_add_f32_e32 v23, v23, v30
	;; [unrolled: 4-line block ×3, first 2 shown]
	v_cndmask_b32_e64 v21, -v86, v86, s[16:17]
	v_add_f32_e32 v21, v21, v33
	ds_bpermute_b32 v33, v69, v21
	v_cndmask_b32_e64 v21, -v21, v21, s[18:19]
	s_waitcnt lgkmcnt(1)
	v_add_f32_e32 v31, v22, v32
	ds_bpermute_b32 v22, v73, v23
	v_cndmask_b32_e64 v56, -v25, v25, s[14:15]
	s_waitcnt lgkmcnt(1)
	v_add_f32_e32 v21, v21, v33
	ds_bpermute_b32 v32, v70, v21
	v_cndmask_b32_e64 v20, -v21, v21, s[20:21]
	v_cndmask_b32_e64 v37, -v77, v77, s[16:17]
	ds_bpermute_b32 v45, v66, v53
	v_cndmask_b32_e64 v61, -v53, v53, s[14:15]
	s_waitcnt lgkmcnt(1)
	v_add_f32_e32 v21, v20, v32
	ds_bpermute_b32 v33, v72, v21
	v_cndmask_b32_e64 v21, -v21, v21, s[22:23]
	v_cndmask_b32_e64 v20, -v23, v23, s[24:25]
	v_add_f32_e32 v32, v20, v22
	ds_bpermute_b32 v20, v66, v82
	s_waitcnt lgkmcnt(1)
	v_add_f32_e32 v33, v21, v33
	ds_bpermute_b32 v34, v73, v33
	v_cndmask_b32_e64 v33, -v33, v33, s[24:25]
	v_cndmask_b32_e64 v22, -v82, v82, s[14:15]
	ds_bpermute_b32 v21, v66, v38
	v_cndmask_b32_e64 v23, -v38, v38, s[14:15]
	s_waitcnt lgkmcnt(1)
	v_add_f32_e32 v33, v33, v34
	ds_bpermute_b32 v34, v67, v87
	ds_write_b128 v68, v[30:33] offset:16384
	ds_bpermute_b32 v30, v67, v88
	ds_bpermute_b32 v32, v67, v89
	v_cndmask_b32_e64 v31, -v87, v87, s[16:17]
	s_waitcnt lgkmcnt(3)
	v_add_f32_e32 v31, v31, v34
	v_cndmask_b32_e64 v33, -v88, v88, s[16:17]
	s_waitcnt lgkmcnt(1)
	v_add_f32_e32 v30, v33, v30
	ds_bpermute_b32 v33, v69, v31
	v_cndmask_b32_e64 v34, -v89, v89, s[16:17]
	s_waitcnt lgkmcnt(1)
	v_add_f32_e32 v32, v34, v32
	ds_bpermute_b32 v34, v69, v30
	;; [unrolled: 4-line block ×8, first 2 shown]
	v_cndmask_b32_e64 v31, -v31, v31, s[22:23]
	s_waitcnt lgkmcnt(1)
	v_add_f32_e32 v31, v31, v33
	v_cndmask_b32_e64 v30, -v30, v30, s[22:23]
	ds_bpermute_b32 v33, v72, v32
	s_waitcnt lgkmcnt(1)
	v_add_f32_e32 v30, v30, v34
	ds_bpermute_b32 v34, v73, v31
	v_cndmask_b32_e64 v31, -v31, v31, s[24:25]
	v_cndmask_b32_e64 v32, -v32, v32, s[22:23]
	s_waitcnt lgkmcnt(1)
	v_add_f32_e32 v32, v32, v33
	ds_bpermute_b32 v38, v66, v25
	s_waitcnt lgkmcnt(1)
	v_add_f32_e32 v82, v31, v34
	v_cndmask_b32_e64 v31, -v90, v90, s[16:17]
	v_add_f32_e32 v31, v31, v36
	ds_bpermute_b32 v33, v69, v31
	v_cndmask_b32_e64 v31, -v31, v31, s[18:19]
	ds_bpermute_b32 v35, v73, v30
	v_cndmask_b32_e64 v30, -v30, v30, s[24:25]
	v_cndmask_b32_e64 v53, -v18, v18, s[14:15]
	s_waitcnt lgkmcnt(1)
	v_add_f32_e32 v31, v31, v33
	ds_bpermute_b32 v33, v70, v31
	v_cndmask_b32_e64 v25, -v31, v31, s[20:21]
	s_waitcnt lgkmcnt(1)
	v_add_f32_e32 v83, v30, v35
	ds_bpermute_b32 v30, v73, v32
	;; [unrolled: 4-line block ×3, first 2 shown]
	v_cndmask_b32_e64 v25, -v25, v25, s[22:23]
	s_waitcnt lgkmcnt(1)
	v_add_f32_e32 v84, v31, v30
	v_cndmask_b32_e64 v30, -v91, v91, s[16:17]
	v_cndmask_b32_e64 v31, -v92, v92, s[16:17]
	s_waitcnt lgkmcnt(0)
	v_add_f32_e32 v25, v25, v26
	ds_bpermute_b32 v26, v73, v25
	v_cndmask_b32_e64 v25, -v25, v25, s[24:25]
	ds_bpermute_b32 v33, v66, v49
	v_cndmask_b32_e64 v35, -v49, v49, s[14:15]
	ds_bpermute_b32 v49, v67, v27
	s_waitcnt lgkmcnt(2)
	v_add_f32_e32 v85, v25, v26
	ds_bpermute_b32 v25, v67, v91
	ds_bpermute_b32 v26, v67, v92
	ds_write_b128 v68, v[82:85] offset:20480
	ds_bpermute_b32 v36, v66, v24
	v_cndmask_b32_e64 v52, -v24, v24, s[14:15]
	s_waitcnt lgkmcnt(3)
	v_add_f32_e32 v25, v30, v25
	ds_bpermute_b32 v30, v67, v77
	s_waitcnt lgkmcnt(3)
	v_add_f32_e32 v26, v31, v26
	ds_bpermute_b32 v31, v69, v25
	v_cndmask_b32_e64 v25, -v25, v25, s[18:19]
	ds_bpermute_b32 v54, v66, v78
	s_waitcnt lgkmcnt(2)
	v_add_f32_e32 v30, v37, v30
	ds_bpermute_b32 v37, v69, v26
	s_waitcnt lgkmcnt(2)
	v_add_f32_e32 v25, v25, v31
	ds_bpermute_b32 v31, v69, v30
	v_cndmask_b32_e64 v26, -v26, v26, s[18:19]
	v_cndmask_b32_e64 v30, -v30, v30, s[18:19]
	s_waitcnt lgkmcnt(1)
	v_add_f32_e32 v26, v26, v37
	ds_bpermute_b32 v37, v70, v25
	s_waitcnt lgkmcnt(1)
	v_add_f32_e32 v30, v30, v31
	ds_bpermute_b32 v31, v70, v26
	v_cndmask_b32_e64 v25, -v25, v25, s[20:21]
	v_cndmask_b32_e64 v26, -v26, v26, s[20:21]
	;; [unrolled: 8-line block ×3, first 2 shown]
	s_waitcnt lgkmcnt(1)
	v_add_f32_e32 v30, v30, v37
	ds_bpermute_b32 v37, v72, v26
	s_waitcnt lgkmcnt(1)
	v_add_f32_e32 v25, v25, v31
	v_cndmask_b32_e64 v26, -v26, v26, s[22:23]
	ds_bpermute_b32 v31, v72, v30
	v_cndmask_b32_e64 v30, -v30, v30, s[22:23]
	s_waitcnt lgkmcnt(1)
	v_add_f32_e32 v26, v26, v37
	ds_bpermute_b32 v37, v73, v25
	v_cndmask_b32_e64 v25, -v25, v25, s[24:25]
	ds_bpermute_b32 v40, v73, v26
	s_waitcnt lgkmcnt(2)
	v_add_f32_e32 v30, v30, v31
	v_cndmask_b32_e64 v26, -v26, v26, s[24:25]
	s_waitcnt lgkmcnt(1)
	v_add_f32_e32 v82, v25, v37
	v_cndmask_b32_e64 v25, -v27, v27, s[16:17]
	v_add_f32_e32 v25, v25, v49
	ds_bpermute_b32 v27, v69, v25
	v_cndmask_b32_e64 v25, -v25, v25, s[18:19]
	ds_bpermute_b32 v37, v66, v18
	s_waitcnt lgkmcnt(2)
	v_add_f32_e32 v83, v26, v40
	ds_bpermute_b32 v26, v73, v30
	s_waitcnt lgkmcnt(2)
	v_add_f32_e32 v25, v25, v27
	ds_bpermute_b32 v27, v70, v25
	v_cndmask_b32_e64 v18, -v25, v25, s[20:21]
	v_cndmask_b32_e64 v24, -v30, v30, s[24:25]
	;; [unrolled: 1-line block ×3, first 2 shown]
	ds_bpermute_b32 v40, v66, v16
	s_waitcnt lgkmcnt(1)
	v_add_f32_e32 v18, v18, v27
	ds_bpermute_b32 v25, v72, v18
	v_cndmask_b32_e64 v18, -v18, v18, s[22:23]
	v_cndmask_b32_e64 v27, -v48, v48, s[14:15]
	;; [unrolled: 1-line block ×4, first 2 shown]
	s_waitcnt lgkmcnt(0)
	v_add_f32_e32 v18, v18, v25
	ds_bpermute_b32 v30, v73, v18
	v_cndmask_b32_e64 v18, -v18, v18, s[24:25]
	ds_bpermute_b32 v25, v66, v48
	ds_bpermute_b32 v48, v67, v19
	;; [unrolled: 1-line block ×3, first 2 shown]
	s_waitcnt lgkmcnt(3)
	v_add_f32_e32 v85, v18, v30
	ds_bpermute_b32 v18, v67, v28
	ds_bpermute_b32 v30, v67, v41
	v_cndmask_b32_e64 v28, -v28, v28, s[16:17]
	v_cndmask_b32_e64 v50, -v101, v101, s[14:15]
	s_waitcnt lgkmcnt(2)
	v_pk_add_f32 v[2:3], v[50:51], v[2:3]
	s_waitcnt lgkmcnt(1)
	v_add_f32_e32 v18, v28, v18
	ds_bpermute_b32 v28, v67, v29
	s_waitcnt lgkmcnt(1)
	v_add_f32_e32 v30, v31, v30
	ds_bpermute_b32 v31, v69, v18
	v_cndmask_b32_e64 v29, -v29, v29, s[16:17]
	v_cndmask_b32_e64 v18, -v18, v18, s[18:19]
	s_waitcnt lgkmcnt(1)
	v_add_f32_e32 v28, v29, v28
	ds_bpermute_b32 v29, v69, v30
	s_waitcnt lgkmcnt(1)
	v_add_f32_e32 v18, v18, v31
	ds_bpermute_b32 v31, v69, v28
	v_cndmask_b32_e64 v30, -v30, v30, s[18:19]
	v_cndmask_b32_e64 v28, -v28, v28, s[18:19]
	;; [unrolled: 8-line block ×4, first 2 shown]
	s_waitcnt lgkmcnt(1)
	v_add_f32_e32 v28, v28, v30
	ds_bpermute_b32 v30, v72, v29
	s_waitcnt lgkmcnt(1)
	v_add_f32_e32 v18, v18, v31
	v_cndmask_b32_e64 v29, -v29, v29, s[22:23]
	ds_bpermute_b32 v31, v72, v28
	v_cndmask_b32_e64 v28, -v28, v28, s[22:23]
	s_waitcnt lgkmcnt(1)
	v_add_f32_e32 v29, v29, v30
	ds_bpermute_b32 v30, v73, v18
	v_cndmask_b32_e64 v18, -v18, v18, s[24:25]
	ds_bpermute_b32 v41, v73, v29
	v_cndmask_b32_e64 v29, -v29, v29, s[24:25]
	s_waitcnt lgkmcnt(2)
	v_add_f32_e32 v28, v28, v31
	s_waitcnt lgkmcnt(1)
	v_add_f32_e32 v76, v18, v30
	v_cndmask_b32_e64 v18, -v19, v19, s[16:17]
	v_add_f32_e32 v18, v18, v48
	ds_bpermute_b32 v19, v69, v18
	v_cndmask_b32_e64 v18, -v18, v18, s[18:19]
	v_cndmask_b32_e64 v48, -v16, v16, s[14:15]
	s_waitcnt lgkmcnt(1)
	v_add_f32_e32 v77, v29, v41
	ds_bpermute_b32 v41, v66, v17
	s_waitcnt lgkmcnt(1)
	v_add_f32_e32 v18, v18, v19
	ds_bpermute_b32 v19, v70, v18
	v_cndmask_b32_e64 v16, -v18, v18, s[20:21]
	ds_bpermute_b32 v29, v73, v28
	v_cndmask_b32_e64 v30, -v71, v71, s[14:15]
	ds_bpermute_b32 v50, v67, v2
	s_waitcnt lgkmcnt(2)
	v_add_f32_e32 v17, v16, v19
	ds_bpermute_b32 v18, v72, v17
	v_cndmask_b32_e64 v17, -v17, v17, s[22:23]
	v_cndmask_b32_e64 v16, -v28, v28, s[24:25]
	s_waitcnt lgkmcnt(2)
	v_add_f32_e32 v78, v16, v29
	v_cndmask_b32_e64 v19, -v1, v1, s[14:15]
	s_waitcnt lgkmcnt(0)
	v_add_f32_e32 v28, v17, v18
	ds_bpermute_b32 v29, v73, v28
	ds_bpermute_b32 v17, v66, v1
	v_cndmask_b32_e64 v1, -v28, v28, s[24:25]
	ds_bpermute_b32 v16, v66, v79
	v_cndmask_b32_e64 v18, -v79, v79, s[14:15]
	s_waitcnt lgkmcnt(2)
	v_add_f32_e32 v79, v1, v29
	v_and_b32_e32 v1, 3, v0
	v_lshrrev_b32_e32 v0, 2, v0
	v_lshlrev_b32_e32 v28, 6, v1
	v_bitop3_b32 v0, v28, v1, v0 bitop3:0x36
	ds_bpermute_b32 v28, v66, v71
	v_lshl_add_u32 v71, v0, 4, 0
	v_pk_add_f32 v[0:1], v[64:65], v[54:55]
	ds_bpermute_b32 v51, v67, v3
	ds_bpermute_b32 v54, v67, v0
	ds_bpermute_b32 v55, v67, v1
	v_cndmask_b32_e64 v3, -v3, v3, s[16:17]
	v_cndmask_b32_e64 v2, -v2, v2, s[16:17]
	v_cndmask_b32_e64 v1, -v1, v1, s[16:17]
	v_cndmask_b32_e64 v0, -v0, v0, s[16:17]
	s_waitcnt lgkmcnt(0)
	v_pk_add_f32 v[0:1], v[0:1], v[54:55]
	v_pk_add_f32 v[2:3], v[2:3], v[50:51]
	ds_bpermute_b32 v50, v69, v2
	ds_bpermute_b32 v51, v69, v3
	ds_bpermute_b32 v54, v69, v0
	ds_bpermute_b32 v55, v69, v1
	v_cndmask_b32_e64 v3, -v3, v3, s[18:19]
	v_cndmask_b32_e64 v2, -v2, v2, s[18:19]
	v_cndmask_b32_e64 v1, -v1, v1, s[18:19]
	v_cndmask_b32_e64 v0, -v0, v0, s[18:19]
	s_waitcnt lgkmcnt(0)
	v_pk_add_f32 v[0:1], v[0:1], v[54:55]
	v_pk_add_f32 v[2:3], v[2:3], v[50:51]
	ds_bpermute_b32 v50, v70, v2
	;; [unrolled: 11-line block ×4, first 2 shown]
	ds_bpermute_b32 v5, v66, v108
	ds_bpermute_b32 v50, v73, v2
	;; [unrolled: 1-line block ×5, first 2 shown]
	v_cndmask_b32_e64 v6, -v102, v102, s[14:15]
	v_cndmask_b32_e64 v7, -v108, v108, s[14:15]
	;; [unrolled: 1-line block ×6, first 2 shown]
	v_pk_add_f32 v[46:47], v[62:63], v[46:47]
	s_waitcnt lgkmcnt(0)
	v_pk_add_f32 v[2:3], v[0:1], v[54:55]
	v_pk_add_f32 v[0:1], v[64:65], v[50:51]
	;; [unrolled: 1-line block ×3, first 2 shown]
	ds_bpermute_b32 v50, v67, v46
	ds_bpermute_b32 v51, v67, v47
	ds_bpermute_b32 v6, v67, v4
	ds_bpermute_b32 v7, v67, v5
	v_cndmask_b32_e64 v47, -v47, v47, s[16:17]
	v_cndmask_b32_e64 v46, -v46, v46, s[16:17]
	v_cndmask_b32_e64 v5, -v5, v5, s[16:17]
	v_cndmask_b32_e64 v4, -v4, v4, s[16:17]
	s_waitcnt lgkmcnt(2)
	v_pk_add_f32 v[46:47], v[46:47], v[50:51]
	s_waitcnt lgkmcnt(0)
	v_pk_add_f32 v[4:5], v[4:5], v[6:7]
	ds_bpermute_b32 v50, v69, v46
	ds_bpermute_b32 v51, v69, v47
	ds_bpermute_b32 v6, v69, v4
	ds_bpermute_b32 v7, v69, v5
	v_cndmask_b32_e64 v47, -v47, v47, s[18:19]
	v_cndmask_b32_e64 v46, -v46, v46, s[18:19]
	v_cndmask_b32_e64 v5, -v5, v5, s[18:19]
	v_cndmask_b32_e64 v4, -v4, v4, s[18:19]
	s_waitcnt lgkmcnt(2)
	v_pk_add_f32 v[46:47], v[46:47], v[50:51]
	s_waitcnt lgkmcnt(0)
	v_pk_add_f32 v[4:5], v[4:5], v[6:7]
	;; [unrolled: 12-line block ×3, first 2 shown]
	ds_bpermute_b32 v50, v72, v46
	ds_bpermute_b32 v51, v72, v47
	;; [unrolled: 1-line block ×4, first 2 shown]
	v_cndmask_b32_e64 v47, -v47, v47, s[22:23]
	v_cndmask_b32_e64 v46, -v46, v46, s[22:23]
	;; [unrolled: 1-line block ×4, first 2 shown]
	s_waitcnt lgkmcnt(2)
	v_pk_add_f32 v[46:47], v[46:47], v[50:51]
	ds_bpermute_b32 v8, v66, v103
	ds_bpermute_b32 v9, v66, v109
	s_waitcnt lgkmcnt(2)
	v_pk_add_f32 v[4:5], v[4:5], v[6:7]
	ds_bpermute_b32 v6, v73, v46
	ds_bpermute_b32 v7, v73, v47
	v_cndmask_b32_e64 v10, -v103, v103, s[14:15]
	v_cndmask_b32_e64 v11, -v109, v109, s[14:15]
	;; [unrolled: 1-line block ×4, first 2 shown]
	v_pk_add_f32 v[44:45], v[60:61], v[44:45]
	s_waitcnt lgkmcnt(0)
	v_pk_add_f32 v[6:7], v[46:47], v[6:7]
	v_pk_add_f32 v[8:9], v[10:11], v[8:9]
	ds_bpermute_b32 v46, v67, v44
	ds_bpermute_b32 v47, v67, v45
	ds_bpermute_b32 v10, v67, v8
	ds_bpermute_b32 v11, v67, v9
	v_cndmask_b32_e64 v45, -v45, v45, s[16:17]
	v_cndmask_b32_e64 v44, -v44, v44, s[16:17]
	v_cndmask_b32_e64 v9, -v9, v9, s[16:17]
	v_cndmask_b32_e64 v8, -v8, v8, s[16:17]
	s_waitcnt lgkmcnt(2)
	v_pk_add_f32 v[44:45], v[44:45], v[46:47]
	s_waitcnt lgkmcnt(0)
	v_pk_add_f32 v[8:9], v[8:9], v[10:11]
	ds_bpermute_b32 v46, v69, v44
	ds_bpermute_b32 v47, v69, v45
	ds_bpermute_b32 v10, v69, v8
	ds_bpermute_b32 v11, v69, v9
	v_cndmask_b32_e64 v45, -v45, v45, s[18:19]
	v_cndmask_b32_e64 v44, -v44, v44, s[18:19]
	v_cndmask_b32_e64 v9, -v9, v9, s[18:19]
	v_cndmask_b32_e64 v8, -v8, v8, s[18:19]
	s_waitcnt lgkmcnt(2)
	v_pk_add_f32 v[44:45], v[44:45], v[46:47]
	s_waitcnt lgkmcnt(0)
	;; [unrolled: 12-line block ×3, first 2 shown]
	v_pk_add_f32 v[8:9], v[8:9], v[10:11]
	ds_bpermute_b32 v46, v72, v44
	ds_bpermute_b32 v47, v72, v45
	;; [unrolled: 1-line block ×4, first 2 shown]
	v_cndmask_b32_e64 v45, -v45, v45, s[22:23]
	v_cndmask_b32_e64 v44, -v44, v44, s[22:23]
	v_cndmask_b32_e64 v9, -v9, v9, s[22:23]
	v_cndmask_b32_e64 v8, -v8, v8, s[22:23]
	s_waitcnt lgkmcnt(2)
	v_pk_add_f32 v[44:45], v[44:45], v[46:47]
	ds_bpermute_b32 v12, v66, v104
	ds_bpermute_b32 v13, v66, v110
	s_waitcnt lgkmcnt(2)
	v_pk_add_f32 v[8:9], v[8:9], v[10:11]
	ds_bpermute_b32 v10, v73, v44
	ds_bpermute_b32 v11, v73, v45
	v_cndmask_b32_e64 v14, -v104, v104, s[14:15]
	v_cndmask_b32_e64 v15, -v110, v110, s[14:15]
	;; [unrolled: 1-line block ×4, first 2 shown]
	v_pk_add_f32 v[42:43], v[58:59], v[42:43]
	s_waitcnt lgkmcnt(0)
	v_pk_add_f32 v[10:11], v[44:45], v[10:11]
	v_pk_add_f32 v[12:13], v[14:15], v[12:13]
	ds_bpermute_b32 v44, v67, v42
	ds_bpermute_b32 v45, v67, v43
	ds_bpermute_b32 v14, v67, v12
	ds_bpermute_b32 v15, v67, v13
	v_cndmask_b32_e64 v43, -v43, v43, s[16:17]
	v_cndmask_b32_e64 v42, -v42, v42, s[16:17]
	v_cndmask_b32_e64 v13, -v13, v13, s[16:17]
	v_cndmask_b32_e64 v12, -v12, v12, s[16:17]
	s_waitcnt lgkmcnt(2)
	v_pk_add_f32 v[42:43], v[42:43], v[44:45]
	s_waitcnt lgkmcnt(0)
	v_pk_add_f32 v[12:13], v[12:13], v[14:15]
	ds_bpermute_b32 v44, v69, v42
	ds_bpermute_b32 v45, v69, v43
	ds_bpermute_b32 v14, v69, v12
	ds_bpermute_b32 v15, v69, v13
	v_cndmask_b32_e64 v43, -v43, v43, s[18:19]
	v_cndmask_b32_e64 v42, -v42, v42, s[18:19]
	v_cndmask_b32_e64 v13, -v13, v13, s[18:19]
	v_cndmask_b32_e64 v12, -v12, v12, s[18:19]
	s_waitcnt lgkmcnt(2)
	v_pk_add_f32 v[42:43], v[42:43], v[44:45]
	s_waitcnt lgkmcnt(0)
	;; [unrolled: 12-line block ×4, first 2 shown]
	v_pk_add_f32 v[12:13], v[12:13], v[14:15]
	ds_bpermute_b32 v14, v73, v42
	ds_bpermute_b32 v15, v73, v43
	v_cndmask_b32_e64 v43, -v43, v43, s[24:25]
	v_cndmask_b32_e64 v42, -v42, v42, s[24:25]
	v_pk_add_f32 v[38:39], v[56:57], v[38:39]
	v_pk_add_f32 v[20:21], v[22:23], v[20:21]
	s_waitcnt lgkmcnt(0)
	v_pk_add_f32 v[14:15], v[42:43], v[14:15]
	ds_bpermute_b32 v42, v67, v38
	ds_bpermute_b32 v43, v67, v39
	ds_bpermute_b32 v22, v67, v20
	ds_bpermute_b32 v23, v67, v21
	v_cndmask_b32_e64 v39, -v39, v39, s[16:17]
	v_cndmask_b32_e64 v38, -v38, v38, s[16:17]
	v_cndmask_b32_e64 v21, -v21, v21, s[16:17]
	v_cndmask_b32_e64 v20, -v20, v20, s[16:17]
	s_waitcnt lgkmcnt(2)
	v_pk_add_f32 v[38:39], v[38:39], v[42:43]
	s_waitcnt lgkmcnt(0)
	v_pk_add_f32 v[20:21], v[20:21], v[22:23]
	ds_bpermute_b32 v42, v69, v38
	ds_bpermute_b32 v43, v69, v39
	ds_bpermute_b32 v22, v69, v20
	ds_bpermute_b32 v23, v69, v21
	v_cndmask_b32_e64 v39, -v39, v39, s[18:19]
	v_cndmask_b32_e64 v38, -v38, v38, s[18:19]
	v_cndmask_b32_e64 v21, -v21, v21, s[18:19]
	v_cndmask_b32_e64 v20, -v20, v20, s[18:19]
	s_waitcnt lgkmcnt(2)
	;; [unrolled: 12-line block ×3, first 2 shown]
	v_pk_add_f32 v[38:39], v[38:39], v[42:43]
	s_waitcnt lgkmcnt(0)
	v_pk_add_f32 v[20:21], v[20:21], v[22:23]
	ds_bpermute_b32 v42, v72, v38
	ds_bpermute_b32 v43, v72, v39
	;; [unrolled: 1-line block ×4, first 2 shown]
	v_cndmask_b32_e64 v39, -v39, v39, s[22:23]
	v_cndmask_b32_e64 v38, -v38, v38, s[22:23]
	ds_bpermute_b32 v32, v66, v81
	v_add_f32_e32 v84, v24, v26
	ds_bpermute_b32 v24, v66, v80
	v_cndmask_b32_e64 v21, -v21, v21, s[22:23]
	v_cndmask_b32_e64 v20, -v20, v20, s[22:23]
	s_waitcnt lgkmcnt(4)
	v_pk_add_f32 v[38:39], v[38:39], v[42:43]
	s_waitcnt lgkmcnt(2)
	v_pk_add_f32 v[20:21], v[20:21], v[22:23]
	ds_bpermute_b32 v22, v73, v38
	ds_bpermute_b32 v23, v73, v39
	v_cndmask_b32_e64 v34, -v81, v81, s[14:15]
	v_cndmask_b32_e64 v26, -v80, v80, s[14:15]
	;; [unrolled: 1-line block ×4, first 2 shown]
	v_pk_add_f32 v[36:37], v[52:53], v[36:37]
	s_waitcnt lgkmcnt(3)
	v_pk_add_f32 v[32:33], v[34:35], v[32:33]
	s_waitcnt lgkmcnt(2)
	;; [unrolled: 2-line block ×3, first 2 shown]
	v_pk_add_f32 v[22:23], v[38:39], v[22:23]
	ds_bpermute_b32 v34, v67, v32
	ds_bpermute_b32 v35, v67, v33
	ds_bpermute_b32 v38, v67, v36
	ds_bpermute_b32 v39, v67, v37
	ds_bpermute_b32 v26, v67, v24
	ds_bpermute_b32 v27, v67, v25
	v_cndmask_b32_e64 v33, -v33, v33, s[16:17]
	v_cndmask_b32_e64 v32, -v32, v32, s[16:17]
	v_cndmask_b32_e64 v37, -v37, v37, s[16:17]
	v_cndmask_b32_e64 v36, -v36, v36, s[16:17]
	v_cndmask_b32_e64 v25, -v25, v25, s[16:17]
	v_cndmask_b32_e64 v24, -v24, v24, s[16:17]
	s_waitcnt lgkmcnt(2)
	v_pk_add_f32 v[36:37], v[36:37], v[38:39]
	v_pk_add_f32 v[32:33], v[32:33], v[34:35]
	s_waitcnt lgkmcnt(0)
	v_pk_add_f32 v[24:25], v[24:25], v[26:27]
	ds_bpermute_b32 v34, v69, v32
	ds_bpermute_b32 v35, v69, v33
	ds_bpermute_b32 v38, v69, v36
	ds_bpermute_b32 v39, v69, v37
	ds_bpermute_b32 v26, v69, v24
	ds_bpermute_b32 v27, v69, v25
	v_cndmask_b32_e64 v33, -v33, v33, s[18:19]
	v_cndmask_b32_e64 v32, -v32, v32, s[18:19]
	v_cndmask_b32_e64 v37, -v37, v37, s[18:19]
	v_cndmask_b32_e64 v36, -v36, v36, s[18:19]
	v_cndmask_b32_e64 v25, -v25, v25, s[18:19]
	v_cndmask_b32_e64 v24, -v24, v24, s[18:19]
	s_waitcnt lgkmcnt(2)
	v_pk_add_f32 v[36:37], v[36:37], v[38:39]
	v_pk_add_f32 v[32:33], v[32:33], v[34:35]
	s_waitcnt lgkmcnt(0)
	;; [unrolled: 17-line block ×4, first 2 shown]
	v_pk_add_f32 v[24:25], v[24:25], v[26:27]
	ds_bpermute_b32 v29, v66, v74
	ds_bpermute_b32 v34, v73, v32
	;; [unrolled: 1-line block ×7, first 2 shown]
	v_pk_add_f32 v[16:17], v[18:19], v[16:17]
	ds_bpermute_b32 v18, v67, v16
	ds_bpermute_b32 v19, v67, v17
	v_cndmask_b32_e64 v31, -v74, v74, s[14:15]
	v_cndmask_b32_e64 v33, -v33, v33, s[24:25]
	;; [unrolled: 1-line block ×7, first 2 shown]
	s_waitcnt lgkmcnt(4)
	v_pk_add_f32 v[38:39], v[36:37], v[38:39]
	v_pk_add_f32 v[36:37], v[32:33], v[34:35]
	;; [unrolled: 1-line block ×3, first 2 shown]
	s_waitcnt lgkmcnt(2)
	v_pk_add_f32 v[48:49], v[24:25], v[26:27]
	v_pk_add_f32 v[24:25], v[30:31], v[28:29]
	v_cndmask_b32_e64 v17, -v17, v17, s[16:17]
	v_cndmask_b32_e64 v16, -v16, v16, s[16:17]
	ds_bpermute_b32 v26, v67, v24
	ds_bpermute_b32 v27, v67, v25
	s_waitcnt lgkmcnt(2)
	v_pk_add_f32 v[16:17], v[16:17], v[18:19]
	ds_bpermute_b32 v18, v69, v16
	ds_bpermute_b32 v19, v69, v17
	v_cndmask_b32_e64 v25, -v25, v25, s[16:17]
	v_cndmask_b32_e64 v24, -v24, v24, s[16:17]
	s_waitcnt lgkmcnt(2)
	v_pk_add_f32 v[24:25], v[24:25], v[26:27]
	v_cndmask_b32_e64 v17, -v17, v17, s[18:19]
	v_cndmask_b32_e64 v16, -v16, v16, s[18:19]
	ds_bpermute_b32 v26, v69, v24
	ds_bpermute_b32 v27, v69, v25
	s_waitcnt lgkmcnt(2)
	v_pk_add_f32 v[16:17], v[16:17], v[18:19]
	ds_bpermute_b32 v18, v70, v16
	ds_bpermute_b32 v19, v70, v17
	v_cndmask_b32_e64 v25, -v25, v25, s[18:19]
	v_cndmask_b32_e64 v24, -v24, v24, s[18:19]
	s_waitcnt lgkmcnt(2)
	v_pk_add_f32 v[24:25], v[24:25], v[26:27]
	v_cndmask_b32_e64 v17, -v17, v17, s[20:21]
	v_cndmask_b32_e64 v16, -v16, v16, s[20:21]
	ds_bpermute_b32 v26, v70, v24
	ds_bpermute_b32 v27, v70, v25
	s_waitcnt lgkmcnt(2)
	v_pk_add_f32 v[16:17], v[16:17], v[18:19]
	ds_bpermute_b32 v18, v72, v16
	ds_bpermute_b32 v19, v72, v17
	v_cndmask_b32_e64 v25, -v25, v25, s[20:21]
	v_cndmask_b32_e64 v24, -v24, v24, s[20:21]
	ds_bpermute_b32 v34, v67, v32
	ds_bpermute_b32 v35, v67, v33
	s_waitcnt lgkmcnt(4)
	v_pk_add_f32 v[24:25], v[24:25], v[26:27]
	v_cndmask_b32_e64 v17, -v17, v17, s[22:23]
	v_cndmask_b32_e64 v16, -v16, v16, s[22:23]
	ds_bpermute_b32 v26, v72, v24
	ds_bpermute_b32 v27, v72, v25
	s_waitcnt lgkmcnt(4)
	v_pk_add_f32 v[16:17], v[16:17], v[18:19]
	ds_bpermute_b32 v18, v73, v16
	ds_bpermute_b32 v19, v73, v17
	v_cndmask_b32_e64 v33, -v33, v33, s[16:17]
	v_cndmask_b32_e64 v32, -v32, v32, s[16:17]
	s_waitcnt lgkmcnt(4)
	v_pk_add_f32 v[32:33], v[32:33], v[34:35]
	v_cndmask_b32_e64 v25, -v25, v25, s[22:23]
	v_cndmask_b32_e64 v24, -v24, v24, s[22:23]
	ds_bpermute_b32 v34, v69, v32
	ds_bpermute_b32 v35, v69, v33
	s_waitcnt lgkmcnt(4)
	v_pk_add_f32 v[24:25], v[24:25], v[26:27]
	v_cndmask_b32_e64 v17, -v17, v17, s[24:25]
	v_cndmask_b32_e64 v16, -v16, v16, s[24:25]
	ds_write_b128 v68, v[82:85] offset:24576
	ds_write_b128 v68, v[76:79] offset:28672
	s_waitcnt lgkmcnt(0)
	s_barrier
	ds_bpermute_b32 v26, v73, v24
	ds_bpermute_b32 v27, v73, v25
	v_pk_add_f32 v[56:57], v[16:17], v[18:19]
	ds_read_b128 v[16:19], v71
	v_cndmask_b32_e64 v33, -v33, v33, s[18:19]
	v_cndmask_b32_e64 v32, -v32, v32, s[18:19]
	v_pk_add_f32 v[32:33], v[32:33], v[34:35]
	v_cndmask_b32_e64 v25, -v25, v25, s[24:25]
	v_cndmask_b32_e64 v24, -v24, v24, s[24:25]
	ds_bpermute_b32 v34, v70, v32
	ds_bpermute_b32 v35, v70, v33
	s_waitcnt lgkmcnt(3)
	v_pk_add_f32 v[58:59], v[24:25], v[26:27]
	ds_read_b128 v[24:27], v71 offset:4096
	s_waitcnt lgkmcnt(3)
	ds_bpermute_b32 v28, v66, v16
	ds_bpermute_b32 v29, v66, v17
	;; [unrolled: 1-line block ×4, first 2 shown]
	v_cndmask_b32_e64 v33, -v33, v33, s[20:21]
	v_cndmask_b32_e64 v32, -v32, v32, s[20:21]
	v_cndmask_b32_e64 v17, -v17, v17, s[14:15]
	v_cndmask_b32_e64 v16, -v16, v16, s[14:15]
	v_cndmask_b32_e64 v19, -v19, v19, s[14:15]
	v_cndmask_b32_e64 v18, -v18, v18, s[14:15]
	s_waitcnt lgkmcnt(5)
	v_pk_add_f32 v[32:33], v[32:33], v[34:35]
	s_waitcnt lgkmcnt(0)
	v_pk_add_f32 v[18:19], v[18:19], v[30:31]
	v_pk_add_f32 v[16:17], v[16:17], v[28:29]
	ds_bpermute_b32 v34, v72, v32
	ds_bpermute_b32 v35, v72, v33
	;; [unrolled: 1-line block ×6, first 2 shown]
	v_cndmask_b32_e64 v33, -v33, v33, s[22:23]
	v_cndmask_b32_e64 v32, -v32, v32, s[22:23]
	;; [unrolled: 1-line block ×6, first 2 shown]
	s_waitcnt lgkmcnt(4)
	v_pk_add_f32 v[32:33], v[32:33], v[34:35]
	s_waitcnt lgkmcnt(0)
	v_pk_add_f32 v[18:19], v[18:19], v[30:31]
	v_pk_add_f32 v[16:17], v[16:17], v[28:29]
	ds_bpermute_b32 v28, v66, v24
	ds_bpermute_b32 v29, v66, v25
	;; [unrolled: 1-line block ×8, first 2 shown]
	v_cndmask_b32_e64 v25, -v25, v25, s[14:15]
	v_cndmask_b32_e64 v24, -v24, v24, s[14:15]
	;; [unrolled: 1-line block ×8, first 2 shown]
	s_waitcnt lgkmcnt(4)
	v_pk_add_f32 v[26:27], v[26:27], v[30:31]
	v_pk_add_f32 v[24:25], v[24:25], v[28:29]
	s_waitcnt lgkmcnt(2)
	v_pk_add_f32 v[4:5], v[4:5], v[50:51]
	ds_bpermute_b32 v42, v73, v20
	ds_bpermute_b32 v43, v73, v21
	s_waitcnt lgkmcnt(2)
	v_pk_add_f32 v[50:51], v[32:33], v[34:35]
	ds_bpermute_b32 v32, v67, v24
	ds_bpermute_b32 v33, v67, v25
	;; [unrolled: 1-line block ×4, first 2 shown]
	ds_read_b128 v[28:31], v71 offset:8192
	v_cndmask_b32_e64 v21, -v21, v21, s[24:25]
	v_cndmask_b32_e64 v20, -v20, v20, s[24:25]
	v_cndmask_b32_e64 v25, -v25, v25, s[16:17]
	v_cndmask_b32_e64 v24, -v24, v24, s[16:17]
	v_cndmask_b32_e64 v27, -v27, v27, s[16:17]
	v_cndmask_b32_e64 v26, -v26, v26, s[16:17]
	s_waitcnt lgkmcnt(5)
	v_pk_add_f32 v[20:21], v[20:21], v[42:43]
	s_waitcnt lgkmcnt(1)
	v_pk_add_f32 v[26:27], v[26:27], v[34:35]
	v_pk_add_f32 v[24:25], v[24:25], v[32:33]
	ds_read_b128 v[32:35], v71 offset:12288
	s_waitcnt lgkmcnt(1)
	ds_bpermute_b32 v40, v66, v28
	ds_bpermute_b32 v41, v66, v29
	;; [unrolled: 1-line block ×4, first 2 shown]
	v_cndmask_b32_e64 v29, -v29, v29, s[14:15]
	v_cndmask_b32_e64 v28, -v28, v28, s[14:15]
	;; [unrolled: 1-line block ×4, first 2 shown]
	s_waitcnt lgkmcnt(0)
	v_pk_add_f32 v[30:31], v[30:31], v[42:43]
	v_pk_add_f32 v[28:29], v[28:29], v[40:41]
	ds_bpermute_b32 v40, v67, v28
	ds_bpermute_b32 v41, v67, v29
	;; [unrolled: 1-line block ×4, first 2 shown]
	v_cndmask_b32_e64 v29, -v29, v29, s[16:17]
	v_cndmask_b32_e64 v28, -v28, v28, s[16:17]
	;; [unrolled: 1-line block ×4, first 2 shown]
	s_waitcnt lgkmcnt(0)
	v_pk_add_f32 v[30:31], v[30:31], v[42:43]
	v_pk_add_f32 v[28:29], v[28:29], v[40:41]
	ds_bpermute_b32 v40, v66, v32
	ds_bpermute_b32 v41, v66, v33
	;; [unrolled: 1-line block ×8, first 2 shown]
	v_cndmask_b32_e64 v33, -v33, v33, s[14:15]
	v_cndmask_b32_e64 v32, -v32, v32, s[14:15]
	;; [unrolled: 1-line block ×8, first 2 shown]
	s_waitcnt lgkmcnt(4)
	v_pk_add_f32 v[34:35], v[34:35], v[42:43]
	v_pk_add_f32 v[32:33], v[32:33], v[40:41]
	s_waitcnt lgkmcnt(2)
	v_pk_add_f32 v[8:9], v[8:9], v[46:47]
	s_waitcnt lgkmcnt(0)
	v_pk_add_f32 v[12:13], v[12:13], v[44:45]
	ds_bpermute_b32 v44, v67, v32
	ds_bpermute_b32 v45, v67, v33
	;; [unrolled: 1-line block ×4, first 2 shown]
	ds_read_b128 v[40:43], v71 offset:16384
	v_cndmask_b32_e64 v33, -v33, v33, s[16:17]
	v_cndmask_b32_e64 v32, -v32, v32, s[16:17]
	;; [unrolled: 1-line block ×4, first 2 shown]
	s_waitcnt lgkmcnt(1)
	v_pk_add_f32 v[34:35], v[34:35], v[46:47]
	v_pk_add_f32 v[32:33], v[32:33], v[44:45]
	ds_read_b128 v[44:47], v71 offset:20480
	s_waitcnt lgkmcnt(1)
	ds_bpermute_b32 v52, v66, v40
	ds_bpermute_b32 v53, v66, v41
	ds_bpermute_b32 v54, v66, v42
	ds_bpermute_b32 v55, v66, v43
	v_cndmask_b32_e64 v41, -v41, v41, s[14:15]
	v_cndmask_b32_e64 v40, -v40, v40, s[14:15]
	v_cndmask_b32_e64 v43, -v43, v43, s[14:15]
	v_cndmask_b32_e64 v42, -v42, v42, s[14:15]
	s_waitcnt lgkmcnt(0)
	v_pk_add_f32 v[42:43], v[42:43], v[54:55]
	v_pk_add_f32 v[40:41], v[40:41], v[52:53]
	ds_bpermute_b32 v52, v67, v40
	ds_bpermute_b32 v53, v67, v41
	ds_bpermute_b32 v54, v67, v42
	ds_bpermute_b32 v55, v67, v43
	v_cndmask_b32_e64 v41, -v41, v41, s[16:17]
	v_cndmask_b32_e64 v40, -v40, v40, s[16:17]
	v_cndmask_b32_e64 v43, -v43, v43, s[16:17]
	v_cndmask_b32_e64 v42, -v42, v42, s[16:17]
	s_waitcnt lgkmcnt(0)
	v_pk_add_f32 v[42:43], v[42:43], v[54:55]
	v_pk_add_f32 v[40:41], v[40:41], v[52:53]
	ds_bpermute_b32 v52, v66, v44
	ds_bpermute_b32 v53, v66, v45
	ds_bpermute_b32 v54, v66, v46
	ds_bpermute_b32 v55, v66, v47
	v_cndmask_b32_e64 v45, -v45, v45, s[14:15]
	v_cndmask_b32_e64 v44, -v44, v44, s[14:15]
	v_cndmask_b32_e64 v47, -v47, v47, s[14:15]
	v_cndmask_b32_e64 v46, -v46, v46, s[14:15]
	s_waitcnt lgkmcnt(0)
	v_pk_add_f32 v[46:47], v[46:47], v[54:55]
	v_pk_add_f32 v[44:45], v[44:45], v[52:53]
	ds_bpermute_b32 v60, v67, v44
	ds_bpermute_b32 v61, v67, v45
	;; [unrolled: 1-line block ×4, first 2 shown]
	v_cndmask_b32_e64 v45, -v45, v45, s[16:17]
	v_cndmask_b32_e64 v44, -v44, v44, s[16:17]
	;; [unrolled: 1-line block ×4, first 2 shown]
	ds_read_b128 v[52:55], v71 offset:24576
	s_waitcnt lgkmcnt(1)
	v_pk_add_f32 v[46:47], v[46:47], v[62:63]
	v_pk_add_f32 v[44:45], v[44:45], v[60:61]
	ds_read_b128 v[60:63], v71 offset:28672
	s_waitcnt lgkmcnt(0)
	s_barrier
	ds_write_b128 v68, v[0:3]
	ds_write_b128 v68, v[4:7] offset:4096
	ds_write_b128 v68, v[8:11] offset:8192
	;; [unrolled: 1-line block ×7, first 2 shown]
	s_waitcnt lgkmcnt(0)
	s_barrier
	ds_read_b128 v[4:7], v71
	ds_read_b128 v[8:11], v71 offset:4096
	ds_bpermute_b32 v64, v66, v52
	ds_bpermute_b32 v65, v66, v53
	;; [unrolled: 1-line block ×3, first 2 shown]
	s_waitcnt lgkmcnt(4)
	ds_bpermute_b32 v12, v66, v4
	ds_bpermute_b32 v13, v66, v5
	ds_bpermute_b32 v14, v66, v6
	ds_bpermute_b32 v15, v66, v7
	v_cndmask_b32_e64 v5, -v5, v5, s[14:15]
	v_cndmask_b32_e64 v4, -v4, v4, s[14:15]
	v_cndmask_b32_e64 v7, -v7, v7, s[14:15]
	v_cndmask_b32_e64 v6, -v6, v6, s[14:15]
	s_waitcnt lgkmcnt(0)
	v_pk_add_f32 v[6:7], v[6:7], v[14:15]
	v_pk_add_f32 v[4:5], v[4:5], v[12:13]
	ds_bpermute_b32 v12, v67, v4
	ds_bpermute_b32 v13, v67, v5
	ds_bpermute_b32 v14, v67, v6
	ds_bpermute_b32 v15, v67, v7
	v_cndmask_b32_e64 v5, -v5, v5, s[16:17]
	v_cndmask_b32_e64 v4, -v4, v4, s[16:17]
	v_cndmask_b32_e64 v7, -v7, v7, s[16:17]
	v_cndmask_b32_e64 v6, -v6, v6, s[16:17]
	s_waitcnt lgkmcnt(0)
	v_pk_add_f32 v[6:7], v[6:7], v[14:15]
	v_pk_add_f32 v[4:5], v[4:5], v[12:13]
	;; [unrolled: 11-line block ×3, first 2 shown]
	ds_bpermute_b32 v20, v67, v8
	ds_bpermute_b32 v21, v67, v9
	;; [unrolled: 1-line block ×4, first 2 shown]
	ds_read_b128 v[12:15], v71 offset:8192
	v_cndmask_b32_e64 v9, -v9, v9, s[16:17]
	v_cndmask_b32_e64 v8, -v8, v8, s[16:17]
	;; [unrolled: 1-line block ×4, first 2 shown]
	s_waitcnt lgkmcnt(1)
	v_pk_add_f32 v[10:11], v[10:11], v[22:23]
	v_pk_add_f32 v[8:9], v[8:9], v[20:21]
	ds_read_b128 v[20:23], v71 offset:12288
	s_waitcnt lgkmcnt(1)
	ds_bpermute_b32 v36, v66, v12
	ds_bpermute_b32 v37, v66, v13
	ds_bpermute_b32 v38, v66, v14
	ds_bpermute_b32 v39, v66, v15
	v_cndmask_b32_e64 v13, -v13, v13, s[14:15]
	v_cndmask_b32_e64 v12, -v12, v12, s[14:15]
	v_cndmask_b32_e64 v15, -v15, v15, s[14:15]
	v_cndmask_b32_e64 v14, -v14, v14, s[14:15]
	s_waitcnt lgkmcnt(0)
	v_pk_add_f32 v[14:15], v[14:15], v[38:39]
	v_pk_add_f32 v[12:13], v[12:13], v[36:37]
	ds_bpermute_b32 v36, v67, v12
	ds_bpermute_b32 v37, v67, v13
	ds_bpermute_b32 v38, v67, v14
	ds_bpermute_b32 v39, v67, v15
	v_cndmask_b32_e64 v13, -v13, v13, s[16:17]
	v_cndmask_b32_e64 v12, -v12, v12, s[16:17]
	v_cndmask_b32_e64 v15, -v15, v15, s[16:17]
	v_cndmask_b32_e64 v14, -v14, v14, s[16:17]
	s_waitcnt lgkmcnt(0)
	v_pk_add_f32 v[14:15], v[14:15], v[38:39]
	v_pk_add_f32 v[12:13], v[12:13], v[36:37]
	;; [unrolled: 11-line block ×3, first 2 shown]
	ds_bpermute_b32 v73, v66, v55
	ds_bpermute_b32 v48, v67, v20
	;; [unrolled: 1-line block ×5, first 2 shown]
	ds_read_b128 v[36:39], v71 offset:16384
	v_cndmask_b32_e64 v53, -v53, v53, s[14:15]
	v_cndmask_b32_e64 v52, -v52, v52, s[14:15]
	v_cndmask_b32_e64 v55, -v55, v55, s[14:15]
	v_cndmask_b32_e64 v54, -v54, v54, s[14:15]
	v_cndmask_b32_e64 v21, -v21, v21, s[16:17]
	v_cndmask_b32_e64 v20, -v20, v20, s[16:17]
	v_cndmask_b32_e64 v23, -v23, v23, s[16:17]
	v_cndmask_b32_e64 v22, -v22, v22, s[16:17]
	s_waitcnt lgkmcnt(5)
	v_pk_add_f32 v[54:55], v[54:55], v[72:73]
	v_pk_add_f32 v[52:53], v[52:53], v[64:65]
	s_waitcnt lgkmcnt(1)
	v_pk_add_f32 v[22:23], v[22:23], v[50:51]
	v_pk_add_f32 v[20:21], v[20:21], v[48:49]
	ds_read_b128 v[48:51], v71 offset:20480
	s_waitcnt lgkmcnt(1)
	ds_bpermute_b32 v56, v66, v36
	ds_bpermute_b32 v57, v66, v37
	ds_bpermute_b32 v58, v66, v38
	ds_bpermute_b32 v59, v66, v39
	ds_bpermute_b32 v64, v67, v52
	ds_bpermute_b32 v65, v67, v53
	ds_bpermute_b32 v72, v67, v54
	ds_bpermute_b32 v73, v67, v55
	v_cndmask_b32_e64 v37, -v37, v37, s[14:15]
	v_cndmask_b32_e64 v36, -v36, v36, s[14:15]
	v_cndmask_b32_e64 v39, -v39, v39, s[14:15]
	v_cndmask_b32_e64 v38, -v38, v38, s[14:15]
	v_cndmask_b32_e64 v53, -v53, v53, s[16:17]
	v_cndmask_b32_e64 v52, -v52, v52, s[16:17]
	v_cndmask_b32_e64 v55, -v55, v55, s[16:17]
	v_cndmask_b32_e64 v54, -v54, v54, s[16:17]
	s_waitcnt lgkmcnt(4)
	v_pk_add_f32 v[38:39], v[38:39], v[58:59]
	v_pk_add_f32 v[36:37], v[36:37], v[56:57]
	s_waitcnt lgkmcnt(0)
	v_pk_add_f32 v[54:55], v[54:55], v[72:73]
	v_pk_add_f32 v[52:53], v[52:53], v[64:65]
	ds_bpermute_b32 v64, v66, v60
	ds_bpermute_b32 v65, v66, v61
	ds_bpermute_b32 v72, v66, v62
	ds_bpermute_b32 v73, v66, v63
	ds_bpermute_b32 v56, v67, v36
	ds_bpermute_b32 v57, v67, v37
	ds_bpermute_b32 v58, v67, v38
	ds_bpermute_b32 v59, v67, v39
	v_cndmask_b32_e64 v61, -v61, v61, s[14:15]
	v_cndmask_b32_e64 v60, -v60, v60, s[14:15]
	v_cndmask_b32_e64 v63, -v63, v63, s[14:15]
	v_cndmask_b32_e64 v62, -v62, v62, s[14:15]
	v_cndmask_b32_e64 v37, -v37, v37, s[16:17]
	v_cndmask_b32_e64 v36, -v36, v36, s[16:17]
	v_cndmask_b32_e64 v39, -v39, v39, s[16:17]
	v_cndmask_b32_e64 v38, -v38, v38, s[16:17]
	s_waitcnt lgkmcnt(4)
	v_pk_add_f32 v[62:63], v[62:63], v[72:73]
	v_pk_add_f32 v[60:61], v[60:61], v[64:65]
	s_waitcnt lgkmcnt(0)
	v_pk_add_f32 v[58:59], v[38:39], v[58:59]
	v_pk_add_f32 v[56:57], v[36:37], v[56:57]
	;; [unrolled: 22-line block ×3, first 2 shown]
	ds_bpermute_b32 v48, v67, v36
	ds_bpermute_b32 v49, v67, v37
	;; [unrolled: 1-line block ×4, first 2 shown]
	v_cndmask_b32_e64 v63, -v37, v37, s[16:17]
	v_cndmask_b32_e64 v62, -v36, v36, s[16:17]
	ds_read_b128 v[36:39], v71 offset:24576
	v_cndmask_b32_e64 v51, -v51, v51, s[16:17]
	v_cndmask_b32_e64 v50, -v50, v50, s[16:17]
	s_waitcnt lgkmcnt(1)
	v_pk_add_f32 v[50:51], v[50:51], v[60:61]
	v_pk_add_f32 v[48:49], v[62:63], v[48:49]
	ds_read_b128 v[60:63], v71 offset:28672
	s_waitcnt lgkmcnt(1)
	ds_bpermute_b32 v64, v66, v36
	ds_bpermute_b32 v65, v66, v37
	ds_bpermute_b32 v72, v66, v38
	ds_bpermute_b32 v73, v66, v39
	v_cndmask_b32_e64 v37, -v37, v37, s[14:15]
	v_cndmask_b32_e64 v36, -v36, v36, s[14:15]
	v_cndmask_b32_e64 v39, -v39, v39, s[14:15]
	v_cndmask_b32_e64 v38, -v38, v38, s[14:15]
	s_waitcnt lgkmcnt(0)
	v_pk_add_f32 v[38:39], v[38:39], v[72:73]
	v_pk_add_f32 v[36:37], v[36:37], v[64:65]
	ds_bpermute_b32 v64, v67, v36
	ds_bpermute_b32 v65, v67, v37
	ds_bpermute_b32 v72, v67, v38
	ds_bpermute_b32 v73, v67, v39
	v_cndmask_b32_e64 v37, -v37, v37, s[16:17]
	v_cndmask_b32_e64 v36, -v36, v36, s[16:17]
	v_cndmask_b32_e64 v39, -v39, v39, s[16:17]
	v_cndmask_b32_e64 v38, -v38, v38, s[16:17]
	s_waitcnt lgkmcnt(0)
	v_pk_add_f32 v[74:75], v[38:39], v[72:73]
	v_pk_add_f32 v[72:73], v[36:37], v[64:65]
	ds_bpermute_b32 v36, v66, v60
	ds_bpermute_b32 v37, v66, v61
	ds_bpermute_b32 v38, v66, v62
	ds_bpermute_b32 v39, v66, v63
	v_cndmask_b32_e64 v61, -v61, v61, s[14:15]
	v_cndmask_b32_e64 v60, -v60, v60, s[14:15]
	v_cndmask_b32_e64 v63, -v63, v63, s[14:15]
	v_cndmask_b32_e64 v62, -v62, v62, s[14:15]
	s_waitcnt lgkmcnt(0)
	v_pk_add_f32 v[38:39], v[62:63], v[38:39]
	v_pk_add_f32 v[36:37], v[60:61], v[36:37]
	ds_bpermute_b32 v60, v67, v36
	ds_bpermute_b32 v61, v67, v37
	ds_bpermute_b32 v62, v67, v38
	ds_bpermute_b32 v63, v67, v39
	v_cndmask_b32_e64 v37, -v37, v37, s[16:17]
	v_cndmask_b32_e64 v36, -v36, v36, s[16:17]
	v_cndmask_b32_e64 v39, -v39, v39, s[16:17]
	v_cndmask_b32_e64 v38, -v38, v38, s[16:17]
	s_waitcnt lgkmcnt(0)
	v_pk_add_f32 v[62:63], v[38:39], v[62:63]
	v_pk_add_f32 v[60:61], v[36:37], v[60:61]
	s_barrier
	ds_write_b128 v71, v[16:19]
	ds_write_b128 v71, v[24:27] offset:4096
	ds_write_b128 v71, v[28:31] offset:8192
	;; [unrolled: 1-line block ×7, first 2 shown]
	s_waitcnt lgkmcnt(0)
	s_barrier
	ds_read_b128 v[32:35], v68
	ds_read_b128 v[0:3], v68 offset:4096
	ds_read_b128 v[40:43], v68 offset:8192
	;; [unrolled: 1-line block ×7, first 2 shown]
	s_waitcnt lgkmcnt(0)
	s_barrier
	ds_write_b128 v71, v[4:7]
	ds_write_b128 v71, v[8:11] offset:4096
	ds_write_b128 v71, v[12:15] offset:8192
	;; [unrolled: 1-line block ×7, first 2 shown]
	s_waitcnt lgkmcnt(0)
	s_barrier
	ds_read_b128 v[56:59], v68
	ds_read_b128 v[20:23], v68 offset:4096
	ds_read_b128 v[60:63], v68 offset:8192
	;; [unrolled: 1-line block ×7, first 2 shown]
	s_mul_i32 s0, s38, s3
	s_mul_hi_u32 s1, s38, s2
	s_add_i32 s0, s1, s0
	s_mul_i32 s1, s39, s2
	s_add_i32 s1, s0, s1
	s_mul_i32 s0, s38, s2
	s_lshl_b64 s[0:1], s[0:1], 1
	s_add_u32 s0, s30, s0
	v_pk_add_f32 v[82:83], v[34:35], v[42:43]
	v_pk_add_f32 v[80:81], v[32:33], v[40:41]
	;; [unrolled: 1-line block ×4, first 2 shown]
	s_waitcnt lgkmcnt(5)
	v_pk_add_f32 v[90:91], v[58:59], v[62:63]
	v_pk_add_f32 v[86:87], v[56:57], v[60:61]
	s_waitcnt lgkmcnt(1)
	v_pk_add_f32 v[94:95], v[14:15], v[50:51]
	v_pk_add_f32 v[92:93], v[12:13], v[48:49]
	;; [unrolled: 1-line block ×8, first 2 shown]
	s_waitcnt lgkmcnt(0)
	v_pk_add_f32 v[110:111], v[6:7], v[10:11]
	v_pk_add_f32 v[108:109], v[4:5], v[8:9]
	s_addc_u32 s1, s31, s1
	s_mov_b32 s35, s34
	v_pk_add_f32 v[64:65], v[82:83], v[88:89]
	v_pk_add_f32 v[66:67], v[80:81], v[84:85]
	v_pk_add_f32 v[68:69], v[90:91], v[94:95]
	v_pk_add_f32 v[70:71], v[86:87], v[92:93]
	v_pk_add_f32 v[72:73], v[98:99], v[104:105]
	v_pk_add_f32 v[74:75], v[96:97], v[100:101]
	v_pk_add_f32 v[76:77], v[106:107], v[110:111]
	v_pk_add_f32 v[78:79], v[102:103], v[108:109]
	s_and_saveexec_b64 s[2:3], s[12:13]
	s_cbranch_execz .LBB37_18
; %bb.17:
	v_pk_add_f32 v[124:125], v[70:71], v[66:67]
	v_pk_add_f32 v[114:115], v[68:69], v[64:65]
	s_mov_b32 s12, s34
	s_mov_b32 s13, s34
	v_pk_mul_f32 v[128:129], s[34:35], v[124:125]
	v_pk_add_f32 v[124:125], v[76:77], v[72:73]
	v_pk_add_f32 v[126:127], v[78:79], v[74:75]
	v_pk_mul_f32 v[114:115], s[12:13], v[114:115]
	v_pk_mul_f32 v[124:125], s[12:13], v[124:125]
	;; [unrolled: 1-line block ×3, first 2 shown]
	v_cvt_pk_bf16_f32 v127, v124, v125
	v_cvt_pk_bf16_f32 v125, v114, v115
	;; [unrolled: 1-line block ×4, first 2 shown]
	global_store_dwordx4 v112, v[124:127], s[0:1]
.LBB37_18:
	s_or_b64 exec, exec, s[2:3]
	v_sub_f32_e32 v43, v35, v43
	v_sub_f32_e32 v42, v34, v42
	;; [unrolled: 1-line block ×32, first 2 shown]
	v_pk_add_f32 v[0:1], v[42:43], v[32:33]
	v_pk_add_f32 v[2:3], v[34:35], v[36:37]
	;; [unrolled: 1-line block ×8, first 2 shown]
	s_and_saveexec_b64 s[2:3], s[8:9]
	s_cbranch_execz .LBB37_20
; %bb.19:
	v_pk_add_f32 v[18:19], v[10:11], v[2:3]
	v_pk_add_f32 v[16:17], v[6:7], v[0:1]
	s_mov_b32 s8, s34
	s_mov_b32 s9, s34
	v_pk_mul_f32 v[20:21], s[34:35], v[18:19]
	v_pk_add_f32 v[18:19], v[12:13], v[4:5]
	v_pk_add_f32 v[22:23], v[14:15], v[8:9]
	v_pk_mul_f32 v[16:17], s[8:9], v[16:17]
	v_pk_mul_f32 v[18:19], s[8:9], v[18:19]
	;; [unrolled: 1-line block ×3, first 2 shown]
	v_cvt_pk_bf16_f32 v19, v18, v19
	v_cvt_pk_bf16_f32 v17, v16, v17
	;; [unrolled: 1-line block ×4, first 2 shown]
	global_store_dwordx4 v122, v[16:19], s[0:1]
.LBB37_20:
	s_or_b64 exec, exec, s[2:3]
	s_nop 0
	v_sub_f32_e32 v19, v83, v89
	v_sub_f32_e32 v18, v82, v88
	;; [unrolled: 1-line block ×16, first 2 shown]
	s_and_saveexec_b64 s[2:3], s[28:29]
	s_cbranch_execz .LBB37_22
; %bb.21:
	v_pk_add_f32 v[62:63], v[22:23], v[30:31]
	v_pk_add_f32 v[60:61], v[18:19], v[26:27]
	s_mov_b32 s8, s34
	s_mov_b32 s9, s34
	v_pk_mul_f32 v[80:81], s[34:35], v[62:63]
	v_pk_add_f32 v[62:63], v[16:17], v[24:25]
	v_pk_add_f32 v[82:83], v[20:21], v[28:29]
	v_pk_mul_f32 v[60:61], s[8:9], v[60:61]
	v_pk_mul_f32 v[62:63], s[8:9], v[62:63]
	;; [unrolled: 1-line block ×3, first 2 shown]
	v_cvt_pk_bf16_f32 v63, v62, v63
	v_cvt_pk_bf16_f32 v61, v60, v61
	;; [unrolled: 1-line block ×4, first 2 shown]
	global_store_dwordx4 v119, v[60:63], s[0:1]
.LBB37_22:
	s_or_b64 exec, exec, s[2:3]
	v_sub_f32_e32 v33, v43, v33
	v_sub_f32_e32 v32, v42, v32
	;; [unrolled: 1-line block ×16, first 2 shown]
	s_and_saveexec_b64 s[2:3], vcc
	s_cbranch_execnz .LBB37_28
; %bb.23:
	s_or_b64 exec, exec, s[2:3]
	s_and_saveexec_b64 s[2:3], s[26:27]
	s_cbranch_execnz .LBB37_29
.LBB37_24:
	s_or_b64 exec, exec, s[2:3]
	s_and_saveexec_b64 s[2:3], s[4:5]
	s_cbranch_execnz .LBB37_30
.LBB37_25:
	s_or_b64 exec, exec, s[2:3]
	s_and_saveexec_b64 s[2:3], s[6:7]
	s_cbranch_execnz .LBB37_31
.LBB37_26:
	s_or_b64 exec, exec, s[2:3]
	s_and_saveexec_b64 s[2:3], s[10:11]
	s_cbranch_execnz .LBB37_32
.LBB37_27:
	s_endpgm
.LBB37_28:
	v_pk_add_f32 v[50:51], v[36:37], v[48:49]
	v_pk_add_f32 v[46:47], v[32:33], v[40:41]
	s_mov_b32 s8, s34
	s_mov_b32 s9, s34
	v_pk_mul_f32 v[54:55], s[34:35], v[50:51]
	v_pk_add_f32 v[50:51], v[34:35], v[42:43]
	v_pk_add_f32 v[52:53], v[38:39], v[44:45]
	v_pk_mul_f32 v[46:47], s[8:9], v[46:47]
	v_pk_mul_f32 v[50:51], s[8:9], v[50:51]
	;; [unrolled: 1-line block ×3, first 2 shown]
	v_cvt_pk_bf16_f32 v53, v50, v51
	v_cvt_pk_bf16_f32 v51, v46, v47
	;; [unrolled: 1-line block ×4, first 2 shown]
	global_store_dwordx4 v116, v[50:53], s[0:1]
	s_or_b64 exec, exec, s[2:3]
	s_and_saveexec_b64 s[2:3], s[26:27]
	s_cbranch_execz .LBB37_24
.LBB37_29:
	v_sub_f32_e32 v47, v67, v71
	v_sub_f32_e32 v46, v66, v70
	;; [unrolled: 1-line block ×4, first 2 shown]
	s_mov_b32 s8, s34
	s_mov_b32 s9, s34
	v_sub_f32_e32 v53, v75, v79
	v_sub_f32_e32 v52, v74, v78
	;; [unrolled: 1-line block ×4, first 2 shown]
	v_pk_mul_f32 v[50:51], s[8:9], v[50:51]
	v_pk_mul_f32 v[46:47], s[34:35], v[46:47]
	;; [unrolled: 1-line block ×4, first 2 shown]
	v_cvt_pk_bf16_f32 v53, v54, v55
	v_cvt_pk_bf16_f32 v52, v56, v57
	;; [unrolled: 1-line block ×4, first 2 shown]
	global_store_dwordx4 v117, v[50:53], s[0:1]
	s_or_b64 exec, exec, s[2:3]
	s_and_saveexec_b64 s[2:3], s[4:5]
	s_cbranch_execz .LBB37_25
.LBB37_30:
	v_sub_f32_e32 v3, v3, v11
	v_sub_f32_e32 v2, v2, v10
	;; [unrolled: 1-line block ×4, first 2 shown]
	s_mov_b32 s4, s34
	s_mov_b32 s5, s34
	v_pk_mul_f32 v[6:7], s[34:35], v[2:3]
	v_sub_f32_e32 v3, v9, v15
	v_sub_f32_e32 v2, v8, v14
	;; [unrolled: 1-line block ×4, first 2 shown]
	v_pk_mul_f32 v[0:1], s[4:5], v[0:1]
	v_pk_mul_f32 v[4:5], s[4:5], v[4:5]
	;; [unrolled: 1-line block ×3, first 2 shown]
	v_cvt_pk_bf16_f32 v3, v4, v5
	v_cvt_pk_bf16_f32 v2, v8, v9
	;; [unrolled: 1-line block ×4, first 2 shown]
	global_store_dwordx4 v118, v[0:3], s[0:1]
	s_or_b64 exec, exec, s[2:3]
	s_and_saveexec_b64 s[2:3], s[6:7]
	s_cbranch_execz .LBB37_26
.LBB37_31:
	v_sub_f32_e32 v1, v23, v31
	v_sub_f32_e32 v0, v22, v30
	v_sub_f32_e32 v3, v19, v27
	v_sub_f32_e32 v2, v18, v26
	s_mov_b32 s4, s34
	s_mov_b32 s5, s34
	v_pk_mul_f32 v[4:5], s[4:5], v[2:3]
	v_pk_mul_f32 v[6:7], s[34:35], v[0:1]
	v_sub_f32_e32 v1, v21, v29
	v_sub_f32_e32 v0, v20, v28
	;; [unrolled: 1-line block ×4, first 2 shown]
	v_pk_mul_f32 v[2:3], s[4:5], v[2:3]
	v_pk_mul_f32 v[0:1], s[34:35], v[0:1]
	v_cvt_pk_bf16_f32 v3, v2, v3
	v_cvt_pk_bf16_f32 v2, v0, v1
	;; [unrolled: 1-line block ×4, first 2 shown]
	global_store_dwordx4 v120, v[0:3], s[0:1]
	s_or_b64 exec, exec, s[2:3]
	s_and_saveexec_b64 s[2:3], s[10:11]
	s_cbranch_execz .LBB37_27
.LBB37_32:
	v_sub_f32_e32 v1, v37, v49
	v_sub_f32_e32 v0, v36, v48
	;; [unrolled: 1-line block ×8, first 2 shown]
	s_mov_b32 s2, s34
	s_mov_b32 s3, s34
	v_pk_mul_f32 v[8:9], s[2:3], v[2:3]
	v_pk_mul_f32 v[10:11], s[34:35], v[0:1]
	;; [unrolled: 1-line block ×4, first 2 shown]
	v_cvt_pk_bf16_f32 v3, v0, v1
	v_cvt_pk_bf16_f32 v2, v4, v5
	;; [unrolled: 1-line block ×4, first 2 shown]
	global_store_dwordx4 v121, v[0:3], s[0:1]
	s_endpgm
	.section	.rodata,"a",@progbits
	.p2align	6, 0x0
	.amdhsa_kernel _Z30fast_hadamard_transform_kernelI37fast_hadamard_transform_kernel_traitsILi256ELi14E14__hip_bfloat16EEv18HadamardParamsBase
		.amdhsa_group_segment_fixed_size 0
		.amdhsa_private_segment_fixed_size 0
		.amdhsa_kernarg_size 312
		.amdhsa_user_sgpr_count 2
		.amdhsa_user_sgpr_dispatch_ptr 0
		.amdhsa_user_sgpr_queue_ptr 0
		.amdhsa_user_sgpr_kernarg_segment_ptr 1
		.amdhsa_user_sgpr_dispatch_id 0
		.amdhsa_user_sgpr_kernarg_preload_length 0
		.amdhsa_user_sgpr_kernarg_preload_offset 0
		.amdhsa_user_sgpr_private_segment_size 0
		.amdhsa_uses_dynamic_stack 0
		.amdhsa_enable_private_segment 0
		.amdhsa_system_sgpr_workgroup_id_x 1
		.amdhsa_system_sgpr_workgroup_id_y 0
		.amdhsa_system_sgpr_workgroup_id_z 0
		.amdhsa_system_sgpr_workgroup_info 0
		.amdhsa_system_vgpr_workitem_id 0
		.amdhsa_next_free_vgpr 132
		.amdhsa_next_free_sgpr 40
		.amdhsa_accum_offset 132
		.amdhsa_reserve_vcc 1
		.amdhsa_float_round_mode_32 0
		.amdhsa_float_round_mode_16_64 0
		.amdhsa_float_denorm_mode_32 3
		.amdhsa_float_denorm_mode_16_64 3
		.amdhsa_dx10_clamp 1
		.amdhsa_ieee_mode 1
		.amdhsa_fp16_overflow 0
		.amdhsa_tg_split 0
		.amdhsa_exception_fp_ieee_invalid_op 0
		.amdhsa_exception_fp_denorm_src 0
		.amdhsa_exception_fp_ieee_div_zero 0
		.amdhsa_exception_fp_ieee_overflow 0
		.amdhsa_exception_fp_ieee_underflow 0
		.amdhsa_exception_fp_ieee_inexact 0
		.amdhsa_exception_int_div_zero 0
	.end_amdhsa_kernel
	.section	.text._Z30fast_hadamard_transform_kernelI37fast_hadamard_transform_kernel_traitsILi256ELi14E14__hip_bfloat16EEv18HadamardParamsBase,"axG",@progbits,_Z30fast_hadamard_transform_kernelI37fast_hadamard_transform_kernel_traitsILi256ELi14E14__hip_bfloat16EEv18HadamardParamsBase,comdat
.Lfunc_end37:
	.size	_Z30fast_hadamard_transform_kernelI37fast_hadamard_transform_kernel_traitsILi256ELi14E14__hip_bfloat16EEv18HadamardParamsBase, .Lfunc_end37-_Z30fast_hadamard_transform_kernelI37fast_hadamard_transform_kernel_traitsILi256ELi14E14__hip_bfloat16EEv18HadamardParamsBase
                                        ; -- End function
	.set _Z30fast_hadamard_transform_kernelI37fast_hadamard_transform_kernel_traitsILi256ELi14E14__hip_bfloat16EEv18HadamardParamsBase.num_vgpr, 132
	.set _Z30fast_hadamard_transform_kernelI37fast_hadamard_transform_kernel_traitsILi256ELi14E14__hip_bfloat16EEv18HadamardParamsBase.num_agpr, 0
	.set _Z30fast_hadamard_transform_kernelI37fast_hadamard_transform_kernel_traitsILi256ELi14E14__hip_bfloat16EEv18HadamardParamsBase.numbered_sgpr, 40
	.set _Z30fast_hadamard_transform_kernelI37fast_hadamard_transform_kernel_traitsILi256ELi14E14__hip_bfloat16EEv18HadamardParamsBase.num_named_barrier, 0
	.set _Z30fast_hadamard_transform_kernelI37fast_hadamard_transform_kernel_traitsILi256ELi14E14__hip_bfloat16EEv18HadamardParamsBase.private_seg_size, 0
	.set _Z30fast_hadamard_transform_kernelI37fast_hadamard_transform_kernel_traitsILi256ELi14E14__hip_bfloat16EEv18HadamardParamsBase.uses_vcc, 1
	.set _Z30fast_hadamard_transform_kernelI37fast_hadamard_transform_kernel_traitsILi256ELi14E14__hip_bfloat16EEv18HadamardParamsBase.uses_flat_scratch, 0
	.set _Z30fast_hadamard_transform_kernelI37fast_hadamard_transform_kernel_traitsILi256ELi14E14__hip_bfloat16EEv18HadamardParamsBase.has_dyn_sized_stack, 0
	.set _Z30fast_hadamard_transform_kernelI37fast_hadamard_transform_kernel_traitsILi256ELi14E14__hip_bfloat16EEv18HadamardParamsBase.has_recursion, 0
	.set _Z30fast_hadamard_transform_kernelI37fast_hadamard_transform_kernel_traitsILi256ELi14E14__hip_bfloat16EEv18HadamardParamsBase.has_indirect_call, 0
	.section	.AMDGPU.csdata,"",@progbits
; Kernel info:
; codeLenInByte = 15680
; TotalNumSgprs: 46
; NumVgprs: 132
; NumAgprs: 0
; TotalNumVgprs: 132
; ScratchSize: 0
; MemoryBound: 0
; FloatMode: 240
; IeeeMode: 1
; LDSByteSize: 0 bytes/workgroup (compile time only)
; SGPRBlocks: 5
; VGPRBlocks: 16
; NumSGPRsForWavesPerEU: 46
; NumVGPRsForWavesPerEU: 132
; AccumOffset: 132
; Occupancy: 3
; WaveLimiterHint : 0
; COMPUTE_PGM_RSRC2:SCRATCH_EN: 0
; COMPUTE_PGM_RSRC2:USER_SGPR: 2
; COMPUTE_PGM_RSRC2:TRAP_HANDLER: 0
; COMPUTE_PGM_RSRC2:TGID_X_EN: 1
; COMPUTE_PGM_RSRC2:TGID_Y_EN: 0
; COMPUTE_PGM_RSRC2:TGID_Z_EN: 0
; COMPUTE_PGM_RSRC2:TIDIG_COMP_CNT: 0
; COMPUTE_PGM_RSRC3_GFX90A:ACCUM_OFFSET: 32
; COMPUTE_PGM_RSRC3_GFX90A:TG_SPLIT: 0
	.section	.text._Z30fast_hadamard_transform_kernelI37fast_hadamard_transform_kernel_traitsILi256ELi15E14__hip_bfloat16EEv18HadamardParamsBase,"axG",@progbits,_Z30fast_hadamard_transform_kernelI37fast_hadamard_transform_kernel_traitsILi256ELi15E14__hip_bfloat16EEv18HadamardParamsBase,comdat
	.protected	_Z30fast_hadamard_transform_kernelI37fast_hadamard_transform_kernel_traitsILi256ELi15E14__hip_bfloat16EEv18HadamardParamsBase ; -- Begin function _Z30fast_hadamard_transform_kernelI37fast_hadamard_transform_kernel_traitsILi256ELi15E14__hip_bfloat16EEv18HadamardParamsBase
	.globl	_Z30fast_hadamard_transform_kernelI37fast_hadamard_transform_kernel_traitsILi256ELi15E14__hip_bfloat16EEv18HadamardParamsBase
	.p2align	8
	.type	_Z30fast_hadamard_transform_kernelI37fast_hadamard_transform_kernel_traitsILi256ELi15E14__hip_bfloat16EEv18HadamardParamsBase,@function
_Z30fast_hadamard_transform_kernelI37fast_hadamard_transform_kernel_traitsILi256ELi15E14__hip_bfloat16EEv18HadamardParamsBase: ; @_Z30fast_hadamard_transform_kernelI37fast_hadamard_transform_kernel_traitsILi256ELi15E14__hip_bfloat16EEv18HadamardParamsBase
; %bb.0:
	s_load_dwordx4 s[52:55], s[0:1], 0x10
	s_load_dword s33, s[0:1], 0x4
	s_load_dwordx4 s[48:51], s[0:1], 0x28
	s_ashr_i32 s3, s2, 31
	s_load_dword s6, s[0:1], 0x44
	s_waitcnt lgkmcnt(0)
	s_mul_hi_u32 s4, s52, s2
	s_mul_i32 s5, s52, s3
	s_add_i32 s4, s4, s5
	s_mul_i32 s5, s53, s2
	s_add_i32 s5, s4, s5
	s_mul_i32 s4, s52, s2
	s_lshl_b64 s[4:5], s[4:5], 1
	s_add_u32 s30, s48, s4
	v_lshlrev_b32_e32 v1, 3, v0
	s_addc_u32 s31, s49, s5
	v_cmp_gt_u32_e64 s[28:29], s33, v1
	v_mov_b32_e32 v1, 0
	v_lshlrev_b32_e32 v128, 4, v0
	v_mov_b32_e32 v15, 0
	v_mov_b32_e32 v17, 0
	;; [unrolled: 1-line block ×8, first 2 shown]
	s_and_saveexec_b64 s[4:5], s[28:29]
	s_cbranch_execz .LBB38_2
; %bb.1:
	global_load_dwordx4 v[2:5], v128, s[30:31]
	s_waitcnt vmcnt(0)
	v_lshlrev_b32_e32 v18, 16, v2
	v_and_b32_e32 v20, 0xffff0000, v2
	v_lshlrev_b32_e32 v19, 16, v3
	v_and_b32_e32 v21, 0xffff0000, v3
	;; [unrolled: 2-line block ×4, first 2 shown]
.LBB38_2:
	s_or_b64 exec, exec, s[4:5]
	s_and_b32 s34, 0xffff, s6
	v_add_u32_e32 v2, s34, v0
	v_lshlrev_b32_e32 v3, 3, v2
	v_cmp_gt_u32_e64 s[26:27], s33, v3
	v_lshlrev_b32_e32 v3, 4, v2
	v_accvgpr_write_b32 a14, v3
	v_mov_b32_e32 v25, 0
	v_mov_b32_e32 v22, 0
	v_mov_b32_e32 v24, 0
	v_mov_b32_e32 v27, 0
	v_mov_b32_e32 v29, 0
	v_mov_b32_e32 v26, 0
	v_mov_b32_e32 v28, 0
	s_and_saveexec_b64 s[4:5], s[26:27]
	s_cbranch_execz .LBB38_4
; %bb.3:
	v_accvgpr_read_b32 v1, a14
	global_load_dwordx4 v[4:7], v1, s[30:31]
	s_waitcnt vmcnt(0)
	v_lshlrev_b32_e32 v26, 16, v4
	v_and_b32_e32 v28, 0xffff0000, v4
	v_lshlrev_b32_e32 v27, 16, v5
	v_and_b32_e32 v29, 0xffff0000, v5
	v_lshlrev_b32_e32 v22, 16, v6
	v_and_b32_e32 v24, 0xffff0000, v6
	v_lshlrev_b32_e32 v1, 16, v7
	v_and_b32_e32 v25, 0xffff0000, v7
.LBB38_4:
	s_or_b64 exec, exec, s[4:5]
	v_add_u32_e32 v2, s34, v2
	v_lshlrev_b32_e32 v3, 3, v2
	v_cmp_gt_u32_e64 s[24:25], s33, v3
	v_lshlrev_b32_e32 v3, 4, v2
	v_mov_b32_e32 v31, 0
	v_accvgpr_write_b32 a13, v3
	v_mov_b32_e32 v34, 0
	v_mov_b32_e32 v36, 0
	v_mov_b32_e32 v33, 0
	v_mov_b32_e32 v35, 0
	v_mov_b32_e32 v38, 0
	v_mov_b32_e32 v40, 0
	v_mov_b32_e32 v37, 0
	v_mov_b32_e32 v39, 0
	s_and_saveexec_b64 s[4:5], s[24:25]
	s_cbranch_execz .LBB38_6
; %bb.5:
	v_accvgpr_read_b32 v3, a13
	global_load_dwordx4 v[4:7], v3, s[30:31]
	s_waitcnt vmcnt(0)
	v_lshlrev_b32_e32 v37, 16, v4
	v_and_b32_e32 v39, 0xffff0000, v4
	v_lshlrev_b32_e32 v38, 16, v5
	v_and_b32_e32 v40, 0xffff0000, v5
	v_lshlrev_b32_e32 v33, 16, v6
	v_and_b32_e32 v35, 0xffff0000, v6
	v_lshlrev_b32_e32 v34, 16, v7
	v_and_b32_e32 v36, 0xffff0000, v7
.LBB38_6:
	s_or_b64 exec, exec, s[4:5]
	v_add_u32_e32 v2, s34, v2
	v_lshlrev_b32_e32 v3, 3, v2
	v_cmp_gt_u32_e64 s[20:21], s33, v3
	v_lshlrev_b32_e32 v3, 4, v2
	v_accvgpr_write_b32 a11, v3
	v_mov_b32_e32 v46, 0
	v_mov_b32_e32 v43, 0
	v_mov_b32_e32 v44, 0
	v_mov_b32_e32 v48, 0
	v_mov_b32_e32 v50, 0
	v_mov_b32_e32 v47, 0
	v_mov_b32_e32 v49, 0
	s_and_saveexec_b64 s[4:5], s[20:21]
	s_cbranch_execz .LBB38_8
; %bb.7:
	v_accvgpr_read_b32 v3, a11
	global_load_dwordx4 v[4:7], v3, s[30:31]
	s_waitcnt vmcnt(0)
	v_lshlrev_b32_e32 v47, 16, v4
	v_and_b32_e32 v49, 0xffff0000, v4
	v_lshlrev_b32_e32 v48, 16, v5
	v_and_b32_e32 v50, 0xffff0000, v5
	v_lshlrev_b32_e32 v43, 16, v6
	v_and_b32_e32 v44, 0xffff0000, v6
	v_lshlrev_b32_e32 v31, 16, v7
	v_and_b32_e32 v46, 0xffff0000, v7
.LBB38_8:
	s_or_b64 exec, exec, s[4:5]
	v_add_u32_e32 v2, s34, v2
	v_lshlrev_b32_e32 v3, 3, v2
	v_cmp_gt_u32_e64 s[14:15], s33, v3
	v_lshlrev_b32_e32 v3, 4, v2
	v_mov_b32_e32 v52, 0
	v_accvgpr_write_b32 a9, v3
	v_mov_b32_e32 v55, 0
	v_mov_b32_e32 v57, 0
	v_mov_b32_e32 v54, 0
	v_mov_b32_e32 v56, 0
	v_mov_b32_e32 v59, 0
	v_mov_b32_e32 v61, 0
	v_mov_b32_e32 v58, 0
	v_mov_b32_e32 v60, 0
	s_and_saveexec_b64 s[4:5], s[14:15]
	s_cbranch_execz .LBB38_10
; %bb.9:
	v_accvgpr_read_b32 v3, a9
	global_load_dwordx4 v[4:7], v3, s[30:31]
	s_waitcnt vmcnt(0)
	v_lshlrev_b32_e32 v58, 16, v4
	v_and_b32_e32 v60, 0xffff0000, v4
	v_lshlrev_b32_e32 v59, 16, v5
	v_and_b32_e32 v61, 0xffff0000, v5
	v_lshlrev_b32_e32 v54, 16, v6
	v_and_b32_e32 v56, 0xffff0000, v6
	v_lshlrev_b32_e32 v55, 16, v7
	v_and_b32_e32 v57, 0xffff0000, v7
.LBB38_10:
	s_or_b64 exec, exec, s[4:5]
	;; [unrolled: 58-line block ×3, first 2 shown]
	v_add_u32_e32 v2, s34, v2
	v_lshlrev_b32_e32 v3, 3, v2
	v_cmp_gt_u32_e32 vcc, s33, v3
	v_lshlrev_b32_e32 v3, 4, v2
	v_accvgpr_write_b32 a0, v3
	v_mov_b32_e32 v85, 0
	v_mov_b32_e32 v83, 0
	;; [unrolled: 1-line block ×7, first 2 shown]
	s_and_saveexec_b64 s[4:5], vcc
	s_cbranch_execz .LBB38_16
; %bb.15:
	v_accvgpr_read_b32 v3, a0
	global_load_dwordx4 v[4:7], v3, s[30:31]
	s_waitcnt vmcnt(0)
	v_lshlrev_b32_e32 v86, 16, v4
	v_and_b32_e32 v89, 0xffff0000, v4
	v_lshlrev_b32_e32 v87, 16, v5
	v_and_b32_e32 v90, 0xffff0000, v5
	;; [unrolled: 2-line block ×4, first 2 shown]
.LBB38_16:
	s_or_b64 exec, exec, s[4:5]
	v_add_u32_e32 v2, s34, v2
	v_lshlrev_b32_e32 v3, 3, v2
	v_cmp_gt_u32_e64 s[44:45], s33, v3
	v_lshlrev_b32_e32 v3, 4, v2
	v_mov_b32_e32 v93, 0
	v_accvgpr_write_b32 a1, v3
	v_mov_b32_e32 v96, 0
	v_mov_b32_e32 v98, 0
	;; [unrolled: 1-line block ×8, first 2 shown]
	s_and_saveexec_b64 s[4:5], s[44:45]
	s_cbranch_execz .LBB38_18
; %bb.17:
	v_accvgpr_read_b32 v3, a1
	global_load_dwordx4 v[4:7], v3, s[30:31]
	s_waitcnt vmcnt(0)
	v_lshlrev_b32_e32 v99, 16, v4
	v_and_b32_e32 v101, 0xffff0000, v4
	v_lshlrev_b32_e32 v100, 16, v5
	v_and_b32_e32 v102, 0xffff0000, v5
	;; [unrolled: 2-line block ×4, first 2 shown]
.LBB38_18:
	s_or_b64 exec, exec, s[4:5]
	v_add_u32_e32 v2, s34, v2
	v_lshlrev_b32_e32 v3, 3, v2
	v_cmp_gt_u32_e64 s[4:5], s33, v3
	v_lshlrev_b32_e32 v3, 4, v2
	v_accvgpr_write_b32 a2, v3
	v_mov_b32_e32 v107, 0
	v_mov_b32_e32 v105, 0
	;; [unrolled: 1-line block ×7, first 2 shown]
	s_and_saveexec_b64 s[6:7], s[4:5]
	s_cbranch_execz .LBB38_20
; %bb.19:
	v_accvgpr_read_b32 v3, a2
	global_load_dwordx4 v[4:7], v3, s[30:31]
	s_waitcnt vmcnt(0)
	v_lshlrev_b32_e32 v108, 16, v4
	v_and_b32_e32 v110, 0xffff0000, v4
	v_lshlrev_b32_e32 v109, 16, v5
	v_and_b32_e32 v111, 0xffff0000, v5
	;; [unrolled: 2-line block ×4, first 2 shown]
.LBB38_20:
	s_or_b64 exec, exec, s[6:7]
	v_add_u32_e32 v2, s34, v2
	v_lshlrev_b32_e32 v3, 3, v2
	v_cmp_gt_u32_e64 s[6:7], s33, v3
	v_lshlrev_b32_e32 v3, 4, v2
	v_mov_b32_e32 v115, 0
	v_accvgpr_write_b32 a4, v3
	v_mov_b32_e32 v117, 0
	v_mov_b32_e32 v119, 0
	;; [unrolled: 1-line block ×8, first 2 shown]
	s_and_saveexec_b64 s[10:11], s[6:7]
	s_cbranch_execz .LBB38_22
; %bb.21:
	v_accvgpr_read_b32 v3, a4
	global_load_dwordx4 v[4:7], v3, s[30:31]
	s_waitcnt vmcnt(0)
	v_lshlrev_b32_e32 v120, 16, v4
	v_and_b32_e32 v122, 0xffff0000, v4
	v_lshlrev_b32_e32 v121, 16, v5
	v_and_b32_e32 v123, 0xffff0000, v5
	;; [unrolled: 2-line block ×4, first 2 shown]
.LBB38_22:
	s_or_b64 exec, exec, s[10:11]
	v_add_u32_e32 v2, s34, v2
	v_lshlrev_b32_e32 v3, 3, v2
	v_cmp_gt_u32_e64 s[10:11], s33, v3
	v_lshlrev_b32_e32 v3, 4, v2
	v_accvgpr_write_b32 a5, v3
	v_mov_b32_e32 v126, 0
	v_mov_b32_e32 v124, 0
	;; [unrolled: 1-line block ×7, first 2 shown]
	s_and_saveexec_b64 s[12:13], s[10:11]
	s_cbranch_execz .LBB38_24
; %bb.23:
	v_accvgpr_read_b32 v3, a5
	global_load_dwordx4 v[4:7], v3, s[30:31]
	s_waitcnt vmcnt(0)
	v_lshlrev_b32_e32 v127, 16, v4
	v_and_b32_e32 v130, 0xffff0000, v4
	v_lshlrev_b32_e32 v129, 16, v5
	v_and_b32_e32 v131, 0xffff0000, v5
	;; [unrolled: 2-line block ×4, first 2 shown]
.LBB38_24:
	s_or_b64 exec, exec, s[12:13]
	v_add_u32_e32 v6, s34, v2
	v_lshlrev_b32_e32 v2, 3, v6
	v_cmp_gt_u32_e64 s[12:13], s33, v2
	v_lshlrev_b32_e32 v2, 4, v6
	v_mov_b32_e32 v132, 0
	v_accvgpr_write_b32 a7, v2
	v_mov_b32_e32 v2, 0
	v_mov_b32_e32 v3, 0
	;; [unrolled: 1-line block ×8, first 2 shown]
	s_and_saveexec_b64 s[16:17], s[12:13]
	s_cbranch_execz .LBB38_26
; %bb.25:
	v_accvgpr_read_b32 v2, a7
	global_load_dwordx4 v[10:13], v2, s[30:31]
	s_waitcnt vmcnt(0)
	v_lshlrev_b32_e32 v2, 16, v10
	v_lshlrev_b32_e32 v3, 16, v11
	v_and_b32_e32 v4, 0xffff0000, v10
	v_and_b32_e32 v5, 0xffff0000, v11
	v_lshlrev_b32_e32 v10, 16, v12
	v_lshlrev_b32_e32 v11, 16, v13
	v_and_b32_e32 v12, 0xffff0000, v12
	v_and_b32_e32 v13, 0xffff0000, v13
.LBB38_26:
	s_or_b64 exec, exec, s[16:17]
	v_add_u32_e32 v62, s34, v6
	v_lshlrev_b32_e32 v6, 3, v62
	v_cmp_gt_u32_e64 s[16:17], s33, v6
	v_mov_b32_e32 v135, 0
	v_mov_b32_e32 v133, 0
	;; [unrolled: 1-line block ×7, first 2 shown]
	s_and_saveexec_b64 s[18:19], s[16:17]
	s_cbranch_execz .LBB38_28
; %bb.27:
	v_mov_b32_e32 v63, 0
	v_lshl_add_u64 v[6:7], v[62:63], 4, s[30:31]
	global_load_dwordx4 v[6:9], v[6:7], off
	s_waitcnt vmcnt(0)
	v_lshlrev_b32_e32 v136, 16, v6
	v_and_b32_e32 v138, 0xffff0000, v6
	v_lshlrev_b32_e32 v137, 16, v7
	v_and_b32_e32 v139, 0xffff0000, v7
	;; [unrolled: 2-line block ×4, first 2 shown]
.LBB38_28:
	s_or_b64 exec, exec, s[18:19]
	v_accvgpr_write_b32 a8, v62
	v_add_u32_e32 v62, s34, v62
	v_lshlrev_b32_e32 v6, 3, v62
	v_cmp_gt_u32_e64 s[18:19], s33, v6
	v_mov_b32_e32 v140, 0
	v_mov_b32_e32 v142, 0
	;; [unrolled: 1-line block ×9, first 2 shown]
	s_and_saveexec_b64 s[22:23], s[18:19]
	s_cbranch_execz .LBB38_30
; %bb.29:
	v_mov_b32_e32 v63, 0
	v_lshl_add_u64 v[6:7], v[62:63], 4, s[30:31]
	global_load_dwordx4 v[6:9], v[6:7], off
	s_waitcnt vmcnt(0)
	v_lshlrev_b32_e32 v145, 16, v6
	v_and_b32_e32 v147, 0xffff0000, v6
	v_lshlrev_b32_e32 v146, 16, v7
	v_and_b32_e32 v148, 0xffff0000, v7
	;; [unrolled: 2-line block ×4, first 2 shown]
.LBB38_30:
	s_or_b64 exec, exec, s[22:23]
	s_load_dword s48, s[0:1], 0x20
	v_add_u32_e32 v6, s34, v62
	v_accvgpr_write_b32 a12, v6
	v_lshlrev_b32_e32 v6, 3, v6
	v_accvgpr_write_b32 a10, v62
	v_cmp_gt_u32_e64 s[22:23], s33, v6
	v_mov_b32_e32 v151, 0
	v_mov_b32_e32 v149, 0
	;; [unrolled: 1-line block ×7, first 2 shown]
	s_and_saveexec_b64 s[0:1], s[22:23]
	s_cbranch_execz .LBB38_32
; %bb.31:
	v_accvgpr_read_b32 v6, a12
	v_mov_b32_e32 v7, 0
	v_lshl_add_u64 v[6:7], v[6:7], 4, s[30:31]
	global_load_dwordx4 v[6:9], v[6:7], off
	s_waitcnt vmcnt(0)
	v_lshlrev_b32_e32 v152, 16, v6
	v_and_b32_e32 v154, 0xffff0000, v6
	v_lshlrev_b32_e32 v153, 16, v7
	v_and_b32_e32 v155, 0xffff0000, v7
	;; [unrolled: 2-line block ×4, first 2 shown]
.LBB38_32:
	s_or_b64 exec, exec, s[0:1]
	v_add_f32_e32 v156, v18, v20
	v_add_f32_e32 v157, v19, v21
	;; [unrolled: 1-line block ×4, first 2 shown]
	v_pk_add_f32 v[6:7], v[4:5], v[2:3]
	v_pk_add_f32 v[2:3], v[2:3], v[4:5] neg_lo:[0,1] neg_hi:[0,1]
	v_pk_add_f32 v[8:9], v[10:11], v[12:13]
	v_pk_add_f32 v[4:5], v[10:11], v[12:13] neg_lo:[0,1] neg_hi:[0,1]
	v_add_f32_e32 v10, v157, v156
	v_add_f32_e32 v11, v159, v158
	v_add_f32_e32 v162, v26, v28
	v_add_f32_e32 v163, v27, v29
	v_add_f32_e32 v164, v22, v24
	v_add_f32_e32 v165, v1, v25
	v_add_f32_e32 v160, v11, v10
	v_sub_f32_e32 v161, v10, v11
	v_add_f32_e32 v10, v163, v162
	v_add_f32_e32 v11, v165, v164
	v_add_f32_e32 v168, v37, v39
	v_add_f32_e32 v169, v38, v40
	v_add_f32_e32 v170, v33, v35
	v_add_f32_e32 v171, v34, v36
	v_add_f32_e32 v166, v11, v10
	v_sub_f32_e32 v167, v10, v11
	;; [unrolled: 8-line block ×7, first 2 shown]
	v_add_f32_e32 v10, v192, v191
	v_add_f32_e32 v11, v194, v193
	;; [unrolled: 1-line block ×6, first 2 shown]
	v_sub_f32_e32 v223, v19, v21
	v_sub_f32_e32 v224, v18, v20
	;; [unrolled: 1-line block ×4, first 2 shown]
	v_add_f32_e32 v92, v11, v10
	v_sub_f32_e32 v76, v10, v11
	v_add_f32_e32 v10, v196, v195
	v_add_f32_e32 v11, v198, v197
	;; [unrolled: 1-line block ×8, first 2 shown]
	v_sub_f32_e32 v27, v27, v29
	v_sub_f32_e32 v26, v26, v28
	;; [unrolled: 1-line block ×4, first 2 shown]
	v_add_f32_e32 v72, v11, v10
	v_sub_f32_e32 v71, v10, v11
	v_add_f32_e32 v10, v200, v199
	v_add_f32_e32 v11, v202, v201
	;; [unrolled: 1-line block ×7, first 2 shown]
	v_sub_f32_e32 v228, v14, v15
	v_add_f32_e32 v14, v26, v27
	v_add_f32_e32 v15, v24, v1
	v_sub_f32_e32 v25, v38, v40
	v_sub_f32_e32 v28, v37, v39
	v_sub_f32_e32 v29, v34, v36
	v_sub_f32_e32 v33, v33, v35
	v_add_f32_e32 v63, v11, v10
	v_sub_f32_e32 v62, v10, v11
	v_add_f32_e32 v10, v204, v203
	v_add_f32_e32 v11, v206, v205
	;; [unrolled: 1-line block ×7, first 2 shown]
	v_sub_f32_e32 v230, v14, v15
	v_add_f32_e32 v14, v28, v25
	v_add_f32_e32 v15, v33, v29
	v_sub_f32_e32 v34, v48, v50
	v_sub_f32_e32 v35, v47, v49
	;; [unrolled: 1-line block ×4, first 2 shown]
	v_add_f32_e32 v53, v11, v10
	v_sub_f32_e32 v51, v10, v11
	v_add_f32_e32 v10, v208, v207
	v_add_f32_e32 v11, v210, v209
	v_add_f32_e32 v231, v15, v14
	v_sub_f32_e32 v232, v14, v15
	v_add_f32_e32 v14, v35, v34
	v_add_f32_e32 v15, v36, v31
	v_sub_f32_e32 v37, v59, v61
	v_sub_f32_e32 v38, v58, v60
	v_sub_f32_e32 v39, v55, v57
	v_sub_f32_e32 v40, v54, v56
	v_add_f32_e32 v45, v11, v10
	v_sub_f32_e32 v42, v10, v11
	v_add_f32_e32 v10, v7, v6
	v_add_f32_e32 v11, v9, v8
	v_add_f32_e32 v211, v138, v136
	v_add_f32_e32 v212, v139, v137
	v_add_f32_e32 v213, v133, v134
	v_add_f32_e32 v214, v132, v135
	v_add_f32_e32 v233, v15, v14
	v_sub_f32_e32 v234, v14, v15
	v_add_f32_e32 v14, v38, v37
	v_add_f32_e32 v15, v40, v39
	v_sub_f32_e32 v43, v68, v70
	v_sub_f32_e32 v44, v67, v69
	v_sub_f32_e32 v46, v52, v66
	v_sub_f32_e32 v47, v64, v65
	v_add_f32_e32 v41, v11, v10
	v_sub_f32_e32 v32, v10, v11
	v_add_f32_e32 v10, v212, v211
	v_add_f32_e32 v11, v214, v213
	v_add_f32_e32 v215, v147, v145
	v_add_f32_e32 v216, v148, v146
	;; [unrolled: 16-line block ×3, first 2 shown]
	v_add_f32_e32 v221, v150, v149
	v_add_f32_e32 v222, v140, v151
	;; [unrolled: 1-line block ×3, first 2 shown]
	v_sub_f32_e32 v238, v14, v15
	v_add_f32_e32 v14, v49, v48
	v_add_f32_e32 v15, v52, v50
	v_sub_f32_e32 v54, v87, v90
	v_sub_f32_e32 v55, v86, v89
	;; [unrolled: 1-line block ×4, first 2 shown]
	v_add_f32_e32 v13, v11, v10
	v_sub_f32_e32 v12, v10, v11
	v_add_f32_e32 v10, v220, v219
	v_add_f32_e32 v113, v222, v221
	;; [unrolled: 1-line block ×3, first 2 shown]
	v_sub_f32_e32 v240, v14, v15
	v_add_f32_e32 v14, v55, v54
	v_add_f32_e32 v15, v57, v56
	v_sub_f32_e32 v58, v100, v102
	v_sub_f32_e32 v59, v99, v101
	;; [unrolled: 1-line block ×4, first 2 shown]
	v_add_f32_e32 v11, v113, v10
	v_sub_f32_e32 v10, v10, v113
	v_add_f32_e32 v241, v15, v14
	v_sub_f32_e32 v113, v14, v15
	v_add_f32_e32 v14, v59, v58
	v_add_f32_e32 v15, v61, v60
	v_sub_f32_e32 v64, v109, v111
	v_sub_f32_e32 v65, v108, v110
	v_sub_f32_e32 v66, v93, v107
	v_sub_f32_e32 v67, v105, v106
	v_add_f32_e32 v99, v15, v14
	v_sub_f32_e32 v102, v14, v15
	v_add_f32_e32 v14, v65, v64
	v_add_f32_e32 v15, v67, v66
	v_sub_f32_e32 v68, v121, v123
	v_sub_f32_e32 v69, v120, v122
	v_sub_f32_e32 v70, v117, v119
	;; [unrolled: 8-line block ×3, first 2 shown]
	v_sub_f32_e32 v78, v124, v125
	v_add_f32_e32 v111, v15, v14
	v_sub_f32_e32 v114, v14, v15
	v_add_f32_e32 v14, v75, v74
	v_add_f32_e32 v15, v78, v77
	;; [unrolled: 1-line block ×3, first 2 shown]
	v_sub_f32_e32 v22, v14, v15
	v_add_f32_e32 v14, v2, v3
	v_add_f32_e32 v15, v4, v5
	v_sub_f32_e32 v79, v137, v139
	v_sub_f32_e32 v80, v136, v138
	v_sub_f32_e32 v81, v132, v135
	v_sub_f32_e32 v82, v133, v134
	v_add_f32_e32 v21, v15, v14
	v_sub_f32_e32 v20, v14, v15
	v_add_f32_e32 v14, v80, v79
	v_add_f32_e32 v15, v82, v81
	v_sub_f32_e32 v83, v146, v148
	v_sub_f32_e32 v84, v145, v147
	v_sub_f32_e32 v85, v142, v144
	v_sub_f32_e32 v86, v141, v143
	v_add_f32_e32 v19, v15, v14
	v_sub_f32_e32 v18, v14, v15
	v_add_f32_e32 v14, v84, v83
	v_add_f32_e32 v15, v86, v85
	v_sub_f32_e32 v87, v153, v155
	v_sub_f32_e32 v89, v152, v154
	v_sub_f32_e32 v90, v140, v151
	v_sub_f32_e32 v93, v149, v150
	v_add_f32_e32 v17, v15, v14
	v_sub_f32_e32 v16, v14, v15
	v_add_f32_e32 v14, v89, v87
	v_add_f32_e32 v95, v93, v90
	;; [unrolled: 1-line block ×3, first 2 shown]
	v_sub_f32_e32 v14, v14, v95
	v_sub_f32_e32 v95, v158, v159
	;; [unrolled: 1-line block ×5, first 2 shown]
	v_add_f32_e32 v97, v96, v95
	v_sub_f32_e32 v95, v96, v95
	v_sub_f32_e32 v96, v164, v165
	v_sub_f32_e32 v98, v162, v163
	v_add_f32_e32 v146, v24, v1
	v_sub_f32_e32 v147, v24, v1
	v_sub_f32_e32 v1, v33, v29
	v_sub_f32_e32 v24, v28, v25
	;; [unrolled: 4-line block ×17, first 2 shown]
	v_sub_f32_e32 v8, v8, v9
	v_sub_f32_e32 v6, v6, v7
	v_add_f32_e32 v164, v24, v1
	v_sub_f32_e32 v165, v24, v1
	v_sub_f32_e32 v1, v73, v70
	;; [unrolled: 1-line block ×3, first 2 shown]
	v_add_f32_e32 v141, v118, v115
	v_sub_f32_e32 v142, v118, v115
	v_sub_f32_e32 v115, v205, v206
	;; [unrolled: 1-line block ×5, first 2 shown]
	v_add_f32_e32 v123, v6, v8
	v_sub_f32_e32 v122, v6, v8
	v_sub_f32_e32 v6, v213, v214
	;; [unrolled: 1-line block ×3, first 2 shown]
	v_add_f32_e32 v168, v24, v1
	v_sub_f32_e32 v169, v24, v1
	v_sub_f32_e32 v1, v78, v77
	;; [unrolled: 1-line block ×3, first 2 shown]
	v_add_f32_e32 v143, v118, v115
	v_sub_f32_e32 v115, v118, v115
	v_add_f32_e32 v118, v121, v120
	v_sub_f32_e32 v130, v121, v120
	v_add_f32_e32 v121, v7, v6
	v_sub_f32_e32 v120, v7, v6
	v_sub_f32_e32 v6, v217, v218
	v_sub_f32_e32 v7, v215, v216
	v_add_f32_e32 v170, v24, v1
	v_sub_f32_e32 v171, v24, v1
	v_sub_f32_e32 v1, v4, v5
	v_sub_f32_e32 v2, v2, v3
	v_add_f32_e32 v9, v7, v6
	v_sub_f32_e32 v8, v7, v6
	;; [unrolled: 4-line block ×6, first 2 shown]
	v_add_f32_e32 v124, v2, v1
	v_sub_f32_e32 v125, v2, v1
	v_sub_f32_e32 v1, v93, v90
	;; [unrolled: 1-line block ×3, first 2 shown]
	v_add_f32_e32 v126, v2, v1
	v_sub_f32_e32 v3, v2, v1
	v_mbcnt_lo_u32_b32 v1, -1, 0
	v_mbcnt_hi_u32_b32 v1, -1, v1
	v_and_b32_e32 v2, 64, v1
	v_add_u32_e32 v2, 64, v2
	v_xor_b32_e32 v4, 1, v1
	v_cmp_lt_i32_e64 s[0:1], v4, v2
	v_and_b32_e32 v5, 1, v0
	v_cmp_eq_u32_e64 s[30:31], 0, v5
	v_cndmask_b32_e64 v4, v1, v4, s[0:1]
	v_lshlrev_b32_e32 v129, 2, v4
	ds_bpermute_b32 v4, v129, v160
	ds_bpermute_b32 v25, v129, v227
	v_cndmask_b32_e64 v5, -v160, v160, s[30:31]
	v_cndmask_b32_e64 v26, -v97, v97, s[30:31]
	;; [unrolled: 1-line block ×3, first 2 shown]
	s_waitcnt lgkmcnt(0)
	v_add_f32_e32 v24, v5, v4
	ds_bpermute_b32 v4, v129, v97
	v_cndmask_b32_e64 v5, -v227, v227, s[30:31]
	v_add_f32_e32 v25, v5, v25
	ds_bpermute_b32 v5, v129, v144
	v_cndmask_b32_e64 v28, -v161, v161, s[30:31]
	s_waitcnt lgkmcnt(1)
	v_add_f32_e32 v26, v26, v4
	ds_bpermute_b32 v4, v129, v161
	v_cndmask_b32_e64 v29, -v228, v228, s[30:31]
	s_waitcnt lgkmcnt(1)
	;; [unrolled: 4-line block ×88, first 2 shown]
	v_add_f32_e32 v117, v117, v5
	ds_bpermute_b32 v5, v129, v170
	ds_bpermute_b32 v134, v129, v171
	s_waitcnt lgkmcnt(2)
	v_add_f32_e32 v118, v118, v4
	ds_bpermute_b32 v4, v129, v42
	ds_bpermute_b32 v135, v129, v21
	s_waitcnt lgkmcnt(3)
	v_add_f32_e32 v119, v119, v5
	v_cndmask_b32_e64 v5, -v42, v42, s[30:31]
	ds_bpermute_b32 v42, v129, v22
	s_waitcnt lgkmcnt(2)
	v_add_f32_e32 v5, v5, v4
	ds_bpermute_b32 v4, v129, v130
	v_cndmask_b32_e64 v22, -v22, v22, s[30:31]
	v_cndmask_b32_e64 v137, -v21, v21, s[30:31]
	s_waitcnt lgkmcnt(1)
	v_add_f32_e32 v42, v22, v42
	v_cndmask_b32_e64 v22, -v130, v130, s[30:31]
	s_waitcnt lgkmcnt(0)
	v_add_f32_e32 v22, v22, v4
	v_cndmask_b32_e64 v4, -v171, v171, s[30:31]
	ds_bpermute_b32 v21, v129, v32
	v_add_f32_e32 v4, v4, v134
	ds_bpermute_b32 v134, v129, v41
	v_cndmask_b32_e64 v136, -v41, v41, s[30:31]
	ds_bpermute_b32 v41, v129, v20
	v_cndmask_b32_e64 v32, -v32, v32, s[30:31]
	s_waitcnt lgkmcnt(2)
	v_add_f32_e32 v21, v32, v21
	ds_bpermute_b32 v32, v129, v122
	v_cndmask_b32_e64 v20, -v20, v20, s[30:31]
	s_waitcnt lgkmcnt(1)
	v_add_f32_e32 v20, v20, v41
	ds_bpermute_b32 v41, v129, v132
	v_cndmask_b32_e64 v122, -v122, v122, s[30:31]
	ds_bpermute_b32 v138, v129, v123
	v_cndmask_b32_e64 v140, -v123, v123, s[30:31]
	s_waitcnt lgkmcnt(2)
	v_add_f32_e32 v32, v122, v32
	ds_bpermute_b32 v122, v129, v30
	v_cndmask_b32_e64 v123, -v132, v132, s[30:31]
	s_waitcnt lgkmcnt(2)
	v_add_f32_e32 v41, v123, v41
	;; [unrolled: 4-line block ×4, first 2 shown]
	ds_bpermute_b32 v123, v129, v131
	ds_bpermute_b32 v130, v129, v23
	v_cndmask_b32_e64 v121, -v121, v121, s[30:31]
	s_waitcnt lgkmcnt(2)
	v_add_f32_e32 v121, v121, v122
	v_cndmask_b32_e64 v122, -v131, v131, s[30:31]
	v_cndmask_b32_e64 v23, -v23, v23, s[30:31]
	s_waitcnt lgkmcnt(1)
	v_add_f32_e32 v122, v122, v123
	ds_bpermute_b32 v123, v129, v18
	s_waitcnt lgkmcnt(1)
	v_add_f32_e32 v23, v23, v130
	ds_bpermute_b32 v130, v129, v120
	v_cndmask_b32_e64 v18, -v18, v18, s[30:31]
	v_cndmask_b32_e64 v120, -v120, v120, s[30:31]
	s_waitcnt lgkmcnt(1)
	v_add_f32_e32 v18, v18, v123
	ds_bpermute_b32 v123, v129, v127
	s_waitcnt lgkmcnt(1)
	v_add_f32_e32 v120, v120, v130
	ds_bpermute_b32 v130, v129, v13
	;; [unrolled: 8-line block ×9, first 2 shown]
	ds_bpermute_b32 v130, v129, v3
	v_cndmask_b32_e64 v6, -v6, v6, s[30:31]
	v_cndmask_b32_e64 v3, -v3, v3, s[30:31]
	;; [unrolled: 1-line block ×3, first 2 shown]
	s_waitcnt lgkmcnt(1)
	v_add_f32_e32 v6, v6, v10
	v_xor_b32_e32 v10, 2, v1
	v_cmp_lt_i32_e64 s[0:1], v10, v2
	s_waitcnt lgkmcnt(0)
	v_add_f32_e32 v3, v3, v130
	v_add_f32_e32 v131, v14, v131
	v_cndmask_b32_e64 v10, v1, v10, s[0:1]
	v_lshlrev_b32_e32 v130, 2, v10
	ds_bpermute_b32 v10, v130, v24
	v_and_b32_e32 v14, 2, v0
	v_cmp_eq_u32_e64 s[34:35], 0, v14
	ds_bpermute_b32 v132, v130, v25
	ds_bpermute_b32 v139, v129, v133
	v_cndmask_b32_e64 v14, -v24, v24, s[34:35]
	ds_bpermute_b32 v24, v130, v26
	s_waitcnt lgkmcnt(3)
	v_add_f32_e32 v10, v14, v10
	v_cndmask_b32_e64 v14, -v25, v25, s[34:35]
	ds_bpermute_b32 v25, v130, v27
	v_cndmask_b32_e64 v26, -v26, v26, s[34:35]
	s_waitcnt lgkmcnt(1)
	v_add_f32_e32 v24, v26, v24
	ds_bpermute_b32 v26, v130, v28
	v_cndmask_b32_e64 v27, -v27, v27, s[34:35]
	s_waitcnt lgkmcnt(1)
	v_add_f32_e32 v25, v27, v25
	;; [unrolled: 4-line block ×59, first 2 shown]
	v_cndmask_b32_e64 v94, -v96, v96, s[34:35]
	ds_bpermute_b32 v96, v130, v98
	v_add_f32_e32 v14, v14, v132
	ds_bpermute_b32 v132, v130, v97
	s_waitcnt lgkmcnt(2)
	v_add_f32_e32 v94, v94, v95
	v_cndmask_b32_e64 v95, -v97, v97, s[34:35]
	ds_bpermute_b32 v97, v130, v72
	v_cndmask_b32_e64 v98, -v98, v98, s[34:35]
	s_waitcnt lgkmcnt(2)
	v_add_f32_e32 v96, v98, v96
	ds_bpermute_b32 v98, v130, v99
	v_cndmask_b32_e64 v72, -v72, v72, s[34:35]
	s_waitcnt lgkmcnt(1)
	v_add_f32_e32 v72, v72, v97
	v_cndmask_b32_e64 v97, -v99, v99, s[34:35]
	ds_bpermute_b32 v99, v130, v101
	v_add_f32_e32 v95, v95, v132
	ds_bpermute_b32 v132, v130, v100
	s_waitcnt lgkmcnt(2)
	v_add_f32_e32 v97, v97, v98
	v_cndmask_b32_e64 v98, -v100, v100, s[34:35]
	ds_bpermute_b32 v100, v130, v71
	v_cndmask_b32_e64 v101, -v101, v101, s[34:35]
	s_waitcnt lgkmcnt(2)
	v_add_f32_e32 v99, v101, v99
	ds_bpermute_b32 v101, v130, v102
	v_cndmask_b32_e64 v71, -v71, v71, s[34:35]
	s_waitcnt lgkmcnt(1)
	v_add_f32_e32 v71, v71, v100
	;; [unrolled: 15-line block ×8, first 2 shown]
	ds_bpermute_b32 v118, v130, v22
	v_cndmask_b32_e64 v42, -v42, v42, s[34:35]
	s_waitcnt lgkmcnt(1)
	v_add_f32_e32 v42, v42, v119
	ds_bpermute_b32 v119, v130, v4
	v_cndmask_b32_e64 v22, -v22, v22, s[34:35]
	s_waitcnt lgkmcnt(1)
	v_add_f32_e32 v22, v22, v118
	;; [unrolled: 4-line block ×14, first 2 shown]
	v_cndmask_b32_e64 v121, -v123, v123, s[34:35]
	ds_bpermute_b32 v123, v130, v9
	s_waitcnt lgkmcnt(1)
	v_add_f32_e32 v121, v121, v122
	ds_bpermute_b32 v122, v130, v17
	v_cndmask_b32_e64 v17, -v17, v17, s[34:35]
	v_cndmask_b32_e64 v9, -v9, v9, s[34:35]
	s_waitcnt lgkmcnt(1)
	v_add_f32_e32 v9, v9, v123
	ds_bpermute_b32 v123, v130, v12
	s_waitcnt lgkmcnt(1)
	v_add_f32_e32 v17, v17, v122
	ds_bpermute_b32 v122, v130, v124
	v_cndmask_b32_e64 v124, -v124, v124, s[34:35]
	v_cndmask_b32_e64 v12, -v12, v12, s[34:35]
	s_waitcnt lgkmcnt(1)
	v_add_f32_e32 v12, v12, v123
	;; [unrolled: 8-line block ×3, first 2 shown]
	v_cndmask_b32_e64 v123, -v125, v125, s[34:35]
	s_waitcnt lgkmcnt(0)
	v_add_f32_e32 v16, v16, v124
	ds_bpermute_b32 v124, v130, v125
	ds_bpermute_b32 v125, v130, v7
	v_add_f32_e32 v116, v116, v132
	ds_bpermute_b32 v132, v130, v13
	v_cndmask_b32_e64 v7, -v7, v7, s[34:35]
	s_waitcnt lgkmcnt(2)
	v_add_f32_e32 v123, v123, v124
	ds_bpermute_b32 v124, v130, v15
	v_cndmask_b32_e64 v15, -v15, v15, s[34:35]
	s_waitcnt lgkmcnt(2)
	;; [unrolled: 4-line block ×3, first 2 shown]
	v_add_f32_e32 v15, v15, v124
	ds_bpermute_b32 v124, v130, v126
	v_cndmask_b32_e64 v126, -v126, v126, s[34:35]
	v_add_f32_e32 v13, v13, v132
	ds_bpermute_b32 v132, v130, v11
	v_cndmask_b32_e64 v11, -v11, v11, s[34:35]
	s_waitcnt lgkmcnt(1)
	v_add_f32_e32 v124, v126, v124
	v_cndmask_b32_e64 v126, -v127, v127, s[34:35]
	ds_bpermute_b32 v127, v130, v131
	v_add_f32_e32 v125, v126, v125
	v_cndmask_b32_e64 v126, -v131, v131, s[34:35]
	ds_bpermute_b32 v131, v130, v3
	s_waitcnt lgkmcnt(2)
	v_add_f32_e32 v11, v11, v132
	s_waitcnt lgkmcnt(1)
	v_add_f32_e32 v126, v126, v127
	v_xor_b32_e32 v127, 4, v1
	ds_bpermute_b32 v132, v130, v6
	v_cmp_lt_i32_e64 s[0:1], v127, v2
	v_cndmask_b32_e64 v3, -v3, v3, s[34:35]
	s_waitcnt lgkmcnt(1)
	v_add_f32_e32 v3, v3, v131
	v_cndmask_b32_e64 v127, v1, v127, s[0:1]
	v_lshlrev_b32_e32 v131, 2, v127
	ds_bpermute_b32 v127, v131, v10
	v_cndmask_b32_e64 v6, -v6, v6, s[34:35]
	s_waitcnt lgkmcnt(1)
	v_add_f32_e32 v6, v6, v132
	v_and_b32_e32 v132, 4, v0
	v_cmp_eq_u32_e64 s[36:37], 0, v132
	ds_bpermute_b32 v132, v131, v25
	v_cndmask_b32_e64 v141, -v133, v133, s[30:31]
	v_cndmask_b32_e64 v10, -v10, v10, s[36:37]
	s_waitcnt lgkmcnt(1)
	v_add_f32_e32 v10, v10, v127
	ds_bpermute_b32 v127, v131, v24
	v_cndmask_b32_e64 v24, -v24, v24, s[36:37]
	v_cndmask_b32_e64 v25, -v25, v25, s[36:37]
	s_waitcnt lgkmcnt(1)
	v_add_f32_e32 v25, v25, v132
	ds_bpermute_b32 v132, v131, v27
	s_waitcnt lgkmcnt(1)
	v_add_f32_e32 v24, v24, v127
	ds_bpermute_b32 v127, v131, v26
	v_cndmask_b32_e64 v26, -v26, v26, s[36:37]
	v_cndmask_b32_e64 v27, -v27, v27, s[36:37]
	s_waitcnt lgkmcnt(1)
	v_add_f32_e32 v27, v27, v132
	ds_bpermute_b32 v132, v131, v29
	;; [unrolled: 8-line block ×58, first 2 shown]
	s_waitcnt lgkmcnt(1)
	v_add_f32_e32 v11, v11, v127
	ds_bpermute_b32 v127, v131, v7
	v_cndmask_b32_e64 v7, -v7, v7, s[36:37]
	ds_bpermute_b32 v133, v131, v14
	v_cndmask_b32_e64 v124, -v124, v124, s[36:37]
	s_waitcnt lgkmcnt(2)
	v_add_f32_e32 v124, v124, v132
	s_waitcnt lgkmcnt(1)
	v_add_f32_e32 v7, v7, v127
	ds_bpermute_b32 v127, v131, v125
	v_cndmask_b32_e64 v125, -v125, v125, s[36:37]
	ds_bpermute_b32 v132, v131, v126
	v_cndmask_b32_e64 v14, -v14, v14, s[36:37]
	s_waitcnt lgkmcnt(2)
	v_add_f32_e32 v14, v14, v133
	s_waitcnt lgkmcnt(1)
	v_add_f32_e32 v125, v125, v127
	ds_bpermute_b32 v127, v131, v6
	v_cndmask_b32_e64 v6, -v6, v6, s[36:37]
	ds_bpermute_b32 v133, v131, v3
	v_cndmask_b32_e64 v126, -v126, v126, s[36:37]
	s_waitcnt lgkmcnt(2)
	v_add_f32_e32 v126, v126, v132
	s_waitcnt lgkmcnt(1)
	v_add_f32_e32 v6, v6, v127
	v_xor_b32_e32 v127, 8, v1
	v_cmp_lt_i32_e64 s[0:1], v127, v2
	v_cndmask_b32_e64 v3, -v3, v3, s[36:37]
	s_waitcnt lgkmcnt(0)
	v_add_f32_e32 v3, v3, v133
	v_cndmask_b32_e64 v127, v1, v127, s[0:1]
	v_lshlrev_b32_e32 v132, 2, v127
	ds_bpermute_b32 v127, v132, v10
	v_and_b32_e32 v133, 8, v0
	v_cmp_eq_u32_e64 s[38:39], 0, v133
	ds_bpermute_b32 v133, v132, v25
	ds_bpermute_b32 v142, v132, v14
	v_cndmask_b32_e64 v10, -v10, v10, s[38:39]
	s_waitcnt lgkmcnt(2)
	v_add_f32_e32 v10, v10, v127
	ds_bpermute_b32 v127, v132, v24
	v_cndmask_b32_e64 v24, -v24, v24, s[38:39]
	v_cndmask_b32_e64 v25, -v25, v25, s[38:39]
	s_waitcnt lgkmcnt(2)
	v_add_f32_e32 v25, v25, v133
	ds_bpermute_b32 v133, v132, v27
	s_waitcnt lgkmcnt(1)
	v_add_f32_e32 v24, v24, v127
	ds_bpermute_b32 v127, v132, v26
	v_cndmask_b32_e64 v26, -v26, v26, s[38:39]
	v_cndmask_b32_e64 v27, -v27, v27, s[38:39]
	s_waitcnt lgkmcnt(1)
	v_add_f32_e32 v27, v27, v133
	ds_bpermute_b32 v133, v132, v29
	;; [unrolled: 8-line block ×59, first 2 shown]
	s_waitcnt lgkmcnt(1)
	v_add_f32_e32 v7, v7, v127
	ds_bpermute_b32 v127, v132, v125
	v_cndmask_b32_e64 v125, -v125, v125, s[38:39]
	v_cndmask_b32_e64 v126, -v126, v126, s[38:39]
	s_waitcnt lgkmcnt(1)
	v_add_f32_e32 v183, v126, v133
	v_and_b32_e32 v126, 16, v0
	s_waitcnt lgkmcnt(0)
	v_add_f32_e32 v144, v125, v127
	ds_bpermute_b32 v125, v132, v6
	v_cndmask_b32_e64 v6, -v6, v6, s[38:39]
	v_cmp_eq_u32_e64 s[40:41], 0, v126
	ds_bpermute_b32 v127, v132, v3
	v_cndmask_b32_e64 v14, -v14, v14, s[38:39]
	s_waitcnt lgkmcnt(1)
	v_add_f32_e32 v6, v6, v125
	v_xor_b32_e32 v125, 16, v1
	v_cmp_lt_i32_e64 s[0:1], v125, v2
	v_add_f32_e32 v14, v14, v142
	v_cndmask_b32_e64 v3, -v3, v3, s[38:39]
	v_cndmask_b32_e64 v125, v1, v125, s[0:1]
	v_lshlrev_b32_e32 v133, 2, v125
	ds_bpermute_b32 v125, v133, v10
	v_cndmask_b32_e64 v10, -v10, v10, s[40:41]
	ds_bpermute_b32 v126, v133, v25
	v_cndmask_b32_e64 v25, -v25, v25, s[40:41]
	s_waitcnt lgkmcnt(2)
	v_add_f32_e32 v3, v3, v127
	s_waitcnt lgkmcnt(1)
	v_add_f32_e32 v10, v10, v125
	ds_bpermute_b32 v125, v133, v24
	v_cndmask_b32_e64 v24, -v24, v24, s[40:41]
	s_waitcnt lgkmcnt(1)
	v_add_f32_e32 v25, v25, v126
	ds_bpermute_b32 v126, v133, v27
	v_cndmask_b32_e64 v27, -v27, v27, s[40:41]
	s_waitcnt lgkmcnt(1)
	v_add_f32_e32 v24, v24, v125
	ds_bpermute_b32 v125, v133, v26
	v_cndmask_b32_e64 v26, -v26, v26, s[40:41]
	s_waitcnt lgkmcnt(1)
	v_add_f32_e32 v27, v27, v126
	ds_bpermute_b32 v126, v133, v29
	v_cndmask_b32_e64 v29, -v29, v29, s[40:41]
	s_waitcnt lgkmcnt(1)
	v_add_f32_e32 v26, v26, v125
	ds_bpermute_b32 v125, v133, v28
	v_cndmask_b32_e64 v28, -v28, v28, s[40:41]
	s_waitcnt lgkmcnt(1)
	v_add_f32_e32 v29, v29, v126
	ds_bpermute_b32 v126, v133, v33
	v_cndmask_b32_e64 v33, -v33, v33, s[40:41]
	s_waitcnt lgkmcnt(1)
	v_add_f32_e32 v28, v28, v125
	ds_bpermute_b32 v125, v133, v31
	v_cndmask_b32_e64 v31, -v31, v31, s[40:41]
	s_waitcnt lgkmcnt(1)
	v_add_f32_e32 v33, v33, v126
	ds_bpermute_b32 v126, v133, v35
	v_cndmask_b32_e64 v35, -v35, v35, s[40:41]
	s_waitcnt lgkmcnt(1)
	v_add_f32_e32 v31, v31, v125
	ds_bpermute_b32 v125, v133, v34
	v_cndmask_b32_e64 v34, -v34, v34, s[40:41]
	s_waitcnt lgkmcnt(1)
	v_add_f32_e32 v35, v35, v126
	ds_bpermute_b32 v126, v133, v37
	v_cndmask_b32_e64 v37, -v37, v37, s[40:41]
	s_waitcnt lgkmcnt(1)
	v_add_f32_e32 v34, v34, v125
	ds_bpermute_b32 v125, v133, v36
	v_cndmask_b32_e64 v36, -v36, v36, s[40:41]
	s_waitcnt lgkmcnt(1)
	v_add_f32_e32 v37, v37, v126
	ds_bpermute_b32 v126, v133, v39
	v_cndmask_b32_e64 v39, -v39, v39, s[40:41]
	s_waitcnt lgkmcnt(1)
	v_add_f32_e32 v36, v36, v125
	ds_bpermute_b32 v125, v133, v38
	v_cndmask_b32_e64 v38, -v38, v38, s[40:41]
	s_waitcnt lgkmcnt(1)
	v_add_f32_e32 v39, v39, v126
	ds_bpermute_b32 v126, v133, v43
	v_cndmask_b32_e64 v43, -v43, v43, s[40:41]
	s_waitcnt lgkmcnt(1)
	v_add_f32_e32 v38, v38, v125
	ds_bpermute_b32 v125, v133, v40
	v_cndmask_b32_e64 v40, -v40, v40, s[40:41]
	s_waitcnt lgkmcnt(1)
	v_add_f32_e32 v43, v43, v126
	ds_bpermute_b32 v126, v133, v46
	v_cndmask_b32_e64 v46, -v46, v46, s[40:41]
	s_waitcnt lgkmcnt(1)
	v_add_f32_e32 v40, v40, v125
	ds_bpermute_b32 v125, v133, v44
	v_cndmask_b32_e64 v44, -v44, v44, s[40:41]
	s_waitcnt lgkmcnt(1)
	v_add_f32_e32 v46, v46, v126
	ds_bpermute_b32 v126, v133, v48
	v_cndmask_b32_e64 v48, -v48, v48, s[40:41]
	s_waitcnt lgkmcnt(1)
	v_add_f32_e32 v44, v44, v125
	ds_bpermute_b32 v125, v133, v47
	v_cndmask_b32_e64 v47, -v47, v47, s[40:41]
	s_waitcnt lgkmcnt(1)
	v_add_f32_e32 v48, v48, v126
	ds_bpermute_b32 v126, v133, v50
	v_cndmask_b32_e64 v50, -v50, v50, s[40:41]
	s_waitcnt lgkmcnt(1)
	v_add_f32_e32 v47, v47, v125
	ds_bpermute_b32 v125, v133, v49
	v_cndmask_b32_e64 v49, -v49, v49, s[40:41]
	s_waitcnt lgkmcnt(1)
	v_add_f32_e32 v50, v50, v126
	ds_bpermute_b32 v126, v133, v54
	v_cndmask_b32_e64 v54, -v54, v54, s[40:41]
	s_waitcnt lgkmcnt(1)
	v_add_f32_e32 v49, v49, v125
	ds_bpermute_b32 v125, v133, v52
	v_cndmask_b32_e64 v52, -v52, v52, s[40:41]
	s_waitcnt lgkmcnt(1)
	v_add_f32_e32 v54, v54, v126
	ds_bpermute_b32 v126, v133, v56
	v_cndmask_b32_e64 v56, -v56, v56, s[40:41]
	s_waitcnt lgkmcnt(1)
	v_add_f32_e32 v52, v52, v125
	ds_bpermute_b32 v125, v133, v55
	v_cndmask_b32_e64 v55, -v55, v55, s[40:41]
	s_waitcnt lgkmcnt(1)
	v_add_f32_e32 v56, v56, v126
	ds_bpermute_b32 v126, v133, v58
	ds_bpermute_b32 v127, v133, v14
	s_waitcnt lgkmcnt(2)
	v_add_f32_e32 v55, v55, v125
	ds_bpermute_b32 v125, v133, v57
	v_cndmask_b32_e64 v57, -v57, v57, s[40:41]
	v_cndmask_b32_e64 v58, -v58, v58, s[40:41]
	;; [unrolled: 1-line block ×3, first 2 shown]
	s_waitcnt lgkmcnt(2)
	v_add_f32_e32 v58, v58, v126
	s_waitcnt lgkmcnt(0)
	v_add_f32_e32 v57, v57, v125
	ds_bpermute_b32 v125, v133, v59
	ds_bpermute_b32 v126, v133, v60
	v_add_f32_e32 v14, v14, v127
	ds_bpermute_b32 v127, v133, v61
	v_cndmask_b32_e64 v59, -v59, v59, s[40:41]
	v_cndmask_b32_e64 v60, -v60, v60, s[40:41]
	s_waitcnt lgkmcnt(2)
	v_add_f32_e32 v59, v59, v125
	s_waitcnt lgkmcnt(1)
	v_add_f32_e32 v125, v60, v126
	ds_bpermute_b32 v60, v133, v64
	v_cndmask_b32_e64 v61, -v61, v61, s[40:41]
	s_waitcnt lgkmcnt(1)
	v_add_f32_e32 v126, v61, v127
	ds_bpermute_b32 v61, v133, v65
	v_cndmask_b32_e64 v64, -v64, v64, s[40:41]
	;; [unrolled: 4-line block ×58, first 2 shown]
	s_waitcnt lgkmcnt(1)
	v_add_f32_e32 v115, v53, v60
	v_cndmask_b32_e64 v60, -v116, v116, s[40:41]
	ds_bpermute_b32 v53, v133, v117
	s_waitcnt lgkmcnt(1)
	v_add_f32_e32 v116, v60, v45
	ds_bpermute_b32 v45, v133, v5
	v_cndmask_b32_e64 v5, -v5, v5, s[40:41]
	v_cndmask_b32_e64 v60, -v117, v117, s[40:41]
	s_waitcnt lgkmcnt(1)
	v_add_f32_e32 v117, v60, v53
	ds_bpermute_b32 v53, v133, v42
	s_waitcnt lgkmcnt(1)
	v_add_f32_e32 v160, v5, v45
	ds_bpermute_b32 v5, v133, v22
	ds_bpermute_b32 v45, v133, v4
	v_cndmask_b32_e64 v22, -v22, v22, s[40:41]
	v_cndmask_b32_e64 v4, -v4, v4, s[40:41]
	;; [unrolled: 1-line block ×3, first 2 shown]
	s_waitcnt lgkmcnt(1)
	v_add_f32_e32 v161, v22, v5
	ds_bpermute_b32 v5, v133, v21
	s_waitcnt lgkmcnt(1)
	v_add_f32_e32 v162, v4, v45
	ds_bpermute_b32 v4, v133, v20
	v_cndmask_b32_e64 v21, -v21, v21, s[40:41]
	v_cndmask_b32_e64 v20, -v20, v20, s[40:41]
	s_waitcnt lgkmcnt(1)
	v_add_f32_e32 v163, v21, v5
	ds_bpermute_b32 v5, v133, v32
	s_waitcnt lgkmcnt(1)
	v_add_f32_e32 v164, v20, v4
	ds_bpermute_b32 v4, v133, v41
	v_cndmask_b32_e64 v20, -v32, v32, s[40:41]
	v_add_f32_e32 v42, v42, v53
	s_waitcnt lgkmcnt(1)
	v_add_f32_e32 v32, v20, v5
	ds_bpermute_b32 v5, v133, v30
	v_cndmask_b32_e64 v20, -v41, v41, s[40:41]
	s_waitcnt lgkmcnt(1)
	v_add_f32_e32 v41, v20, v4
	ds_bpermute_b32 v4, v133, v19
	v_cndmask_b32_e64 v20, -v30, v30, s[40:41]
	;; [unrolled: 4-line block ×20, first 2 shown]
	s_waitcnt lgkmcnt(1)
	v_add_f32_e32 v7, v7, v5
	ds_bpermute_b32 v5, v133, v144
	ds_bpermute_b32 v9, v133, v3
	v_cndmask_b32_e64 v8, -v124, v124, s[40:41]
	s_waitcnt lgkmcnt(2)
	v_add_f32_e32 v182, v8, v4
	v_cndmask_b32_e64 v4, -v144, v144, s[40:41]
	v_cndmask_b32_e64 v3, -v3, v3, s[40:41]
	ds_bpermute_b32 v8, v133, v183
	s_waitcnt lgkmcnt(2)
	v_add_f32_e32 v184, v4, v5
	v_cndmask_b32_e64 v5, -v183, v183, s[40:41]
	s_waitcnt lgkmcnt(1)
	v_add_f32_e32 v183, v3, v9
	v_xor_b32_e32 v3, 32, v1
	v_cmp_lt_i32_e64 s[0:1], v3, v2
	v_and_b32_e32 v2, 32, v0
	ds_bpermute_b32 v4, v133, v6
	v_cndmask_b32_e64 v1, v1, v3, s[0:1]
	v_lshlrev_b32_e32 v144, 2, v1
	ds_bpermute_b32 v1, v144, v10
	v_cmp_eq_u32_e64 s[42:43], 0, v2
	ds_bpermute_b32 v3, v144, v14
	s_waitcnt lgkmcnt(3)
	v_add_f32_e32 v185, v5, v8
	v_cndmask_b32_e64 v2, -v10, v10, s[42:43]
	s_waitcnt lgkmcnt(1)
	v_add_f32_e32 v2, v2, v1
	ds_bpermute_b32 v1, v144, v24
	v_cndmask_b32_e64 v5, -v6, v6, s[40:41]
	v_add_f32_e32 v6, v5, v4
	v_cndmask_b32_e64 v4, -v14, v14, s[42:43]
	s_waitcnt lgkmcnt(1)
	v_add_f32_e32 v3, v4, v3
	ds_bpermute_b32 v5, v144, v25
	v_cndmask_b32_e64 v4, -v24, v24, s[42:43]
	s_waitcnt lgkmcnt(1)
	v_add_f32_e32 v4, v4, v1
	ds_bpermute_b32 v1, v144, v26
	;; [unrolled: 4-line block ×114, first 2 shown]
	v_cndmask_b32_e64 v48, -v179, v179, s[42:43]
	s_waitcnt lgkmcnt(1)
	v_add_f32_e32 v43, v48, v43
	v_cndmask_b32_e64 v48, -v180, v180, s[42:43]
	ds_bpermute_b32 v49, v144, v181
	s_waitcnt lgkmcnt(1)
	v_add_f32_e32 v48, v48, v1
	ds_bpermute_b32 v1, v144, v7
	v_cndmask_b32_e64 v50, -v181, v181, s[42:43]
	ds_bpermute_b32 v51, v144, v182
	v_cndmask_b32_e64 v7, -v7, v7, s[42:43]
	s_waitcnt lgkmcnt(2)
	v_add_f32_e32 v49, v50, v49
	s_waitcnt lgkmcnt(1)
	v_add_f32_e32 v50, v7, v1
	ds_bpermute_b32 v1, v144, v184
	v_cndmask_b32_e64 v7, -v182, v182, s[42:43]
	s_waitcnt lgkmcnt(1)
	v_add_f32_e32 v51, v7, v51
	v_cndmask_b32_e64 v7, -v184, v184, s[42:43]
	ds_bpermute_b32 v59, v144, v183
	s_waitcnt lgkmcnt(1)
	v_add_f32_e32 v56, v7, v1
	ds_bpermute_b32 v1, v144, v6
	ds_bpermute_b32 v57, v144, v185
	v_cndmask_b32_e64 v6, -v6, v6, s[42:43]
	v_cndmask_b32_e64 v7, -v185, v185, s[42:43]
	s_waitcnt lgkmcnt(0)
	v_add_f32_e32 v58, v6, v1
	v_cndmask_b32_e64 v1, -v183, v183, s[42:43]
	v_add_f32_e32 v59, v1, v59
	v_lshrrev_b32_e32 v1, 6, v0
	v_add_f32_e32 v57, v7, v57
	v_and_b32_e32 v6, 3, v0
	v_lshrrev_b32_e32 v7, 2, v0
	v_xor_b32_e32 v0, v1, v0
	v_lshl_add_u32 v142, v0, 4, 0
	v_lshlrev_b32_e32 v0, 6, v6
	v_bitop3_b32 v0, v0, v6, v7 bitop3:0x36
	v_lshl_add_u32 v143, v0, 4, 0
	s_barrier
	ds_write_b128 v142, v[2:5]
	ds_write_b128 v142, v[12:15] offset:4096
	ds_write_b128 v142, v[20:23] offset:8192
	;; [unrolled: 1-line block ×7, first 2 shown]
	s_waitcnt lgkmcnt(0)
	s_barrier
	ds_read_b128 v[0:3], v143
	ds_read_b128 v[4:7], v143 offset:4096
	ds_read_b128 v[12:15], v143 offset:8192
	;; [unrolled: 1-line block ×7, first 2 shown]
	s_waitcnt lgkmcnt(7)
	ds_bpermute_b32 v60, v129, v0
	v_cndmask_b32_e64 v0, -v0, v0, s[30:31]
	ds_bpermute_b32 v61, v129, v1
	v_cndmask_b32_e64 v1, -v1, v1, s[30:31]
	s_waitcnt lgkmcnt(0)
	v_add_f32_e32 v0, v0, v60
	ds_bpermute_b32 v60, v129, v2
	v_cndmask_b32_e64 v2, -v2, v2, s[30:31]
	v_add_f32_e32 v1, v1, v61
	ds_bpermute_b32 v61, v129, v3
	v_cndmask_b32_e64 v3, -v3, v3, s[30:31]
	s_waitcnt lgkmcnt(1)
	v_add_f32_e32 v2, v2, v60
	ds_bpermute_b32 v60, v129, v4
	v_cndmask_b32_e64 v4, -v4, v4, s[30:31]
	s_waitcnt lgkmcnt(1)
	v_add_f32_e32 v3, v3, v61
	ds_bpermute_b32 v61, v129, v5
	v_cndmask_b32_e64 v5, -v5, v5, s[30:31]
	s_waitcnt lgkmcnt(1)
	v_add_f32_e32 v4, v4, v60
	ds_bpermute_b32 v60, v129, v6
	v_cndmask_b32_e64 v6, -v6, v6, s[30:31]
	s_waitcnt lgkmcnt(1)
	v_add_f32_e32 v5, v5, v61
	ds_bpermute_b32 v61, v129, v7
	v_cndmask_b32_e64 v7, -v7, v7, s[30:31]
	s_waitcnt lgkmcnt(1)
	v_add_f32_e32 v6, v6, v60
	ds_bpermute_b32 v60, v129, v12
	v_cndmask_b32_e64 v12, -v12, v12, s[30:31]
	s_waitcnt lgkmcnt(1)
	v_add_f32_e32 v7, v7, v61
	ds_bpermute_b32 v61, v129, v13
	v_cndmask_b32_e64 v13, -v13, v13, s[30:31]
	s_waitcnt lgkmcnt(1)
	v_add_f32_e32 v12, v12, v60
	ds_bpermute_b32 v60, v129, v14
	v_cndmask_b32_e64 v14, -v14, v14, s[30:31]
	s_waitcnt lgkmcnt(1)
	v_add_f32_e32 v13, v13, v61
	ds_bpermute_b32 v61, v129, v15
	v_cndmask_b32_e64 v15, -v15, v15, s[30:31]
	s_waitcnt lgkmcnt(1)
	v_add_f32_e32 v14, v14, v60
	ds_bpermute_b32 v60, v129, v20
	v_cndmask_b32_e64 v20, -v20, v20, s[30:31]
	s_waitcnt lgkmcnt(1)
	v_add_f32_e32 v15, v15, v61
	ds_bpermute_b32 v61, v129, v21
	v_cndmask_b32_e64 v21, -v21, v21, s[30:31]
	s_waitcnt lgkmcnt(1)
	v_add_f32_e32 v20, v20, v60
	ds_bpermute_b32 v60, v129, v22
	v_cndmask_b32_e64 v22, -v22, v22, s[30:31]
	s_waitcnt lgkmcnt(1)
	v_add_f32_e32 v21, v21, v61
	ds_bpermute_b32 v61, v129, v23
	v_cndmask_b32_e64 v23, -v23, v23, s[30:31]
	s_waitcnt lgkmcnt(1)
	v_add_f32_e32 v22, v22, v60
	ds_bpermute_b32 v60, v129, v28
	v_cndmask_b32_e64 v28, -v28, v28, s[30:31]
	s_waitcnt lgkmcnt(1)
	v_add_f32_e32 v23, v23, v61
	ds_bpermute_b32 v61, v129, v29
	v_cndmask_b32_e64 v29, -v29, v29, s[30:31]
	s_waitcnt lgkmcnt(1)
	v_add_f32_e32 v28, v28, v60
	ds_bpermute_b32 v60, v129, v30
	v_cndmask_b32_e64 v30, -v30, v30, s[30:31]
	s_waitcnt lgkmcnt(1)
	v_add_f32_e32 v29, v29, v61
	ds_bpermute_b32 v61, v129, v31
	v_cndmask_b32_e64 v31, -v31, v31, s[30:31]
	s_waitcnt lgkmcnt(1)
	v_add_f32_e32 v30, v30, v60
	ds_bpermute_b32 v60, v129, v36
	v_cndmask_b32_e64 v36, -v36, v36, s[30:31]
	s_waitcnt lgkmcnt(1)
	v_add_f32_e32 v31, v31, v61
	ds_bpermute_b32 v61, v129, v37
	v_cndmask_b32_e64 v37, -v37, v37, s[30:31]
	s_waitcnt lgkmcnt(1)
	v_add_f32_e32 v36, v36, v60
	ds_bpermute_b32 v60, v129, v38
	v_cndmask_b32_e64 v38, -v38, v38, s[30:31]
	s_waitcnt lgkmcnt(1)
	v_add_f32_e32 v37, v37, v61
	ds_bpermute_b32 v61, v129, v39
	v_cndmask_b32_e64 v39, -v39, v39, s[30:31]
	s_waitcnt lgkmcnt(1)
	v_add_f32_e32 v38, v38, v60
	ds_bpermute_b32 v60, v129, v44
	v_cndmask_b32_e64 v44, -v44, v44, s[30:31]
	s_waitcnt lgkmcnt(1)
	v_add_f32_e32 v39, v39, v61
	ds_bpermute_b32 v61, v129, v45
	v_cndmask_b32_e64 v45, -v45, v45, s[30:31]
	s_waitcnt lgkmcnt(1)
	v_add_f32_e32 v44, v44, v60
	ds_bpermute_b32 v60, v129, v46
	v_cndmask_b32_e64 v46, -v46, v46, s[30:31]
	s_waitcnt lgkmcnt(1)
	v_add_f32_e32 v45, v45, v61
	ds_bpermute_b32 v61, v129, v47
	v_cndmask_b32_e64 v47, -v47, v47, s[30:31]
	s_waitcnt lgkmcnt(1)
	v_add_f32_e32 v46, v46, v60
	ds_bpermute_b32 v60, v129, v52
	v_cndmask_b32_e64 v52, -v52, v52, s[30:31]
	s_waitcnt lgkmcnt(1)
	v_add_f32_e32 v47, v47, v61
	ds_bpermute_b32 v61, v129, v53
	v_cndmask_b32_e64 v53, -v53, v53, s[30:31]
	s_waitcnt lgkmcnt(1)
	v_add_f32_e32 v52, v52, v60
	ds_bpermute_b32 v60, v129, v54
	v_cndmask_b32_e64 v54, -v54, v54, s[30:31]
	s_waitcnt lgkmcnt(1)
	v_add_f32_e32 v53, v53, v61
	ds_bpermute_b32 v61, v129, v55
	v_cndmask_b32_e64 v55, -v55, v55, s[30:31]
	s_waitcnt lgkmcnt(1)
	v_add_f32_e32 v54, v54, v60
	ds_bpermute_b32 v60, v130, v0
	v_cndmask_b32_e64 v0, -v0, v0, s[34:35]
	s_waitcnt lgkmcnt(1)
	v_add_f32_e32 v55, v55, v61
	ds_bpermute_b32 v61, v130, v1
	v_cndmask_b32_e64 v1, -v1, v1, s[34:35]
	s_waitcnt lgkmcnt(1)
	v_add_f32_e32 v0, v0, v60
	ds_bpermute_b32 v60, v130, v2
	v_cndmask_b32_e64 v2, -v2, v2, s[34:35]
	s_waitcnt lgkmcnt(1)
	v_add_f32_e32 v1, v1, v61
	ds_bpermute_b32 v61, v130, v3
	v_cndmask_b32_e64 v3, -v3, v3, s[34:35]
	s_waitcnt lgkmcnt(1)
	v_add_f32_e32 v2, v2, v60
	ds_bpermute_b32 v60, v130, v4
	v_cndmask_b32_e64 v4, -v4, v4, s[34:35]
	s_waitcnt lgkmcnt(1)
	v_add_f32_e32 v3, v3, v61
	ds_bpermute_b32 v61, v130, v5
	v_cndmask_b32_e64 v5, -v5, v5, s[34:35]
	s_waitcnt lgkmcnt(1)
	v_add_f32_e32 v4, v4, v60
	ds_bpermute_b32 v60, v130, v6
	v_cndmask_b32_e64 v6, -v6, v6, s[34:35]
	s_waitcnt lgkmcnt(1)
	v_add_f32_e32 v5, v5, v61
	ds_bpermute_b32 v61, v130, v7
	v_cndmask_b32_e64 v7, -v7, v7, s[34:35]
	s_waitcnt lgkmcnt(1)
	v_add_f32_e32 v6, v6, v60
	ds_bpermute_b32 v60, v130, v12
	v_cndmask_b32_e64 v12, -v12, v12, s[34:35]
	s_waitcnt lgkmcnt(1)
	v_add_f32_e32 v7, v7, v61
	ds_bpermute_b32 v61, v130, v13
	v_cndmask_b32_e64 v13, -v13, v13, s[34:35]
	s_waitcnt lgkmcnt(1)
	v_add_f32_e32 v12, v12, v60
	ds_bpermute_b32 v60, v130, v14
	v_cndmask_b32_e64 v14, -v14, v14, s[34:35]
	s_waitcnt lgkmcnt(1)
	v_add_f32_e32 v13, v13, v61
	ds_bpermute_b32 v61, v130, v15
	v_cndmask_b32_e64 v15, -v15, v15, s[34:35]
	s_waitcnt lgkmcnt(1)
	v_add_f32_e32 v14, v14, v60
	ds_bpermute_b32 v60, v130, v20
	v_cndmask_b32_e64 v20, -v20, v20, s[34:35]
	s_waitcnt lgkmcnt(1)
	v_add_f32_e32 v15, v15, v61
	ds_bpermute_b32 v61, v130, v21
	v_cndmask_b32_e64 v21, -v21, v21, s[34:35]
	s_waitcnt lgkmcnt(1)
	v_add_f32_e32 v20, v20, v60
	ds_bpermute_b32 v60, v130, v22
	v_cndmask_b32_e64 v22, -v22, v22, s[34:35]
	s_waitcnt lgkmcnt(1)
	v_add_f32_e32 v21, v21, v61
	ds_bpermute_b32 v61, v130, v23
	v_cndmask_b32_e64 v23, -v23, v23, s[34:35]
	s_waitcnt lgkmcnt(1)
	v_add_f32_e32 v22, v22, v60
	ds_bpermute_b32 v60, v130, v28
	v_cndmask_b32_e64 v28, -v28, v28, s[34:35]
	s_waitcnt lgkmcnt(1)
	v_add_f32_e32 v23, v23, v61
	ds_bpermute_b32 v61, v130, v29
	v_cndmask_b32_e64 v29, -v29, v29, s[34:35]
	s_waitcnt lgkmcnt(1)
	v_add_f32_e32 v28, v28, v60
	ds_bpermute_b32 v60, v130, v30
	v_cndmask_b32_e64 v30, -v30, v30, s[34:35]
	s_waitcnt lgkmcnt(1)
	v_add_f32_e32 v29, v29, v61
	ds_bpermute_b32 v61, v130, v31
	v_cndmask_b32_e64 v31, -v31, v31, s[34:35]
	s_waitcnt lgkmcnt(1)
	v_add_f32_e32 v30, v30, v60
	ds_bpermute_b32 v60, v130, v36
	v_cndmask_b32_e64 v36, -v36, v36, s[34:35]
	s_waitcnt lgkmcnt(1)
	v_add_f32_e32 v31, v31, v61
	ds_bpermute_b32 v61, v130, v37
	v_cndmask_b32_e64 v37, -v37, v37, s[34:35]
	s_waitcnt lgkmcnt(1)
	v_add_f32_e32 v36, v36, v60
	ds_bpermute_b32 v60, v130, v38
	v_cndmask_b32_e64 v38, -v38, v38, s[34:35]
	s_waitcnt lgkmcnt(1)
	v_add_f32_e32 v37, v37, v61
	ds_bpermute_b32 v61, v130, v39
	v_cndmask_b32_e64 v39, -v39, v39, s[34:35]
	s_waitcnt lgkmcnt(1)
	v_add_f32_e32 v38, v38, v60
	ds_bpermute_b32 v60, v130, v44
	v_cndmask_b32_e64 v44, -v44, v44, s[34:35]
	s_waitcnt lgkmcnt(1)
	v_add_f32_e32 v39, v39, v61
	ds_bpermute_b32 v61, v130, v45
	v_cndmask_b32_e64 v45, -v45, v45, s[34:35]
	s_waitcnt lgkmcnt(1)
	v_add_f32_e32 v44, v44, v60
	ds_bpermute_b32 v60, v130, v46
	v_cndmask_b32_e64 v46, -v46, v46, s[34:35]
	s_waitcnt lgkmcnt(1)
	v_add_f32_e32 v45, v45, v61
	ds_bpermute_b32 v61, v130, v47
	v_cndmask_b32_e64 v47, -v47, v47, s[34:35]
	s_waitcnt lgkmcnt(1)
	v_add_f32_e32 v46, v46, v60
	ds_bpermute_b32 v60, v130, v52
	v_cndmask_b32_e64 v52, -v52, v52, s[34:35]
	s_waitcnt lgkmcnt(1)
	v_add_f32_e32 v47, v47, v61
	ds_bpermute_b32 v61, v130, v53
	ds_bpermute_b32 v62, v130, v55
	s_waitcnt lgkmcnt(2)
	v_add_f32_e32 v52, v52, v60
	ds_bpermute_b32 v60, v130, v54
	v_cndmask_b32_e64 v53, -v53, v53, s[34:35]
	v_cndmask_b32_e64 v54, -v54, v54, s[34:35]
	;; [unrolled: 1-line block ×3, first 2 shown]
	s_barrier
	s_waitcnt lgkmcnt(0)
	ds_write_b128 v142, v[64:67]
	ds_write_b128 v142, v[68:71] offset:4096
	ds_write_b128 v142, v[72:75] offset:8192
	;; [unrolled: 1-line block ×7, first 2 shown]
	s_waitcnt lgkmcnt(0)
	s_barrier
	v_add_f32_e32 v53, v53, v61
	v_add_f32_e32 v54, v54, v60
	;; [unrolled: 1-line block ×3, first 2 shown]
	ds_read_b128 v[60:63], v143
	ds_read_b128 v[64:67], v143 offset:4096
	s_mul_i32 s0, s54, s3
	s_mul_hi_u32 s1, s54, s2
	s_add_i32 s0, s1, s0
	s_waitcnt lgkmcnt(1)
	ds_bpermute_b32 v68, v129, v60
	ds_bpermute_b32 v69, v129, v61
	ds_bpermute_b32 v70, v129, v62
	ds_bpermute_b32 v71, v129, v63
	v_cndmask_b32_e64 v61, -v61, v61, s[30:31]
	v_cndmask_b32_e64 v60, -v60, v60, s[30:31]
	v_cndmask_b32_e64 v63, -v63, v63, s[30:31]
	v_cndmask_b32_e64 v62, -v62, v62, s[30:31]
	s_waitcnt lgkmcnt(0)
	v_pk_add_f32 v[62:63], v[62:63], v[70:71]
	v_pk_add_f32 v[60:61], v[60:61], v[68:69]
	ds_bpermute_b32 v68, v130, v60
	ds_bpermute_b32 v69, v130, v61
	ds_bpermute_b32 v70, v130, v62
	ds_bpermute_b32 v71, v130, v63
	v_cndmask_b32_e64 v61, -v61, v61, s[34:35]
	v_cndmask_b32_e64 v60, -v60, v60, s[34:35]
	v_cndmask_b32_e64 v63, -v63, v63, s[34:35]
	v_cndmask_b32_e64 v62, -v62, v62, s[34:35]
	s_waitcnt lgkmcnt(0)
	v_pk_add_f32 v[62:63], v[62:63], v[70:71]
	v_pk_add_f32 v[60:61], v[60:61], v[68:69]
	ds_bpermute_b32 v68, v129, v64
	ds_bpermute_b32 v69, v129, v65
	ds_bpermute_b32 v70, v129, v66
	ds_bpermute_b32 v71, v129, v67
	v_cndmask_b32_e64 v65, -v65, v65, s[30:31]
	v_cndmask_b32_e64 v64, -v64, v64, s[30:31]
	v_cndmask_b32_e64 v67, -v67, v67, s[30:31]
	v_cndmask_b32_e64 v66, -v66, v66, s[30:31]
	s_waitcnt lgkmcnt(0)
	v_pk_add_f32 v[66:67], v[66:67], v[70:71]
	v_pk_add_f32 v[64:65], v[64:65], v[68:69]
	ds_bpermute_b32 v72, v130, v64
	ds_bpermute_b32 v73, v130, v65
	ds_bpermute_b32 v74, v130, v66
	ds_bpermute_b32 v75, v130, v67
	ds_read_b128 v[68:71], v143 offset:8192
	v_cndmask_b32_e64 v65, -v65, v65, s[34:35]
	v_cndmask_b32_e64 v64, -v64, v64, s[34:35]
	;; [unrolled: 1-line block ×4, first 2 shown]
	s_waitcnt lgkmcnt(1)
	v_pk_add_f32 v[66:67], v[66:67], v[74:75]
	v_pk_add_f32 v[64:65], v[64:65], v[72:73]
	ds_read_b128 v[72:75], v143 offset:12288
	s_waitcnt lgkmcnt(1)
	ds_bpermute_b32 v76, v129, v68
	ds_bpermute_b32 v77, v129, v69
	ds_bpermute_b32 v78, v129, v70
	ds_bpermute_b32 v79, v129, v71
	v_cndmask_b32_e64 v69, -v69, v69, s[30:31]
	v_cndmask_b32_e64 v68, -v68, v68, s[30:31]
	v_cndmask_b32_e64 v71, -v71, v71, s[30:31]
	v_cndmask_b32_e64 v70, -v70, v70, s[30:31]
	s_waitcnt lgkmcnt(0)
	v_pk_add_f32 v[70:71], v[70:71], v[78:79]
	v_pk_add_f32 v[68:69], v[68:69], v[76:77]
	ds_bpermute_b32 v76, v130, v68
	ds_bpermute_b32 v77, v130, v69
	ds_bpermute_b32 v78, v130, v70
	ds_bpermute_b32 v79, v130, v71
	v_cndmask_b32_e64 v69, -v69, v69, s[34:35]
	v_cndmask_b32_e64 v68, -v68, v68, s[34:35]
	v_cndmask_b32_e64 v71, -v71, v71, s[34:35]
	v_cndmask_b32_e64 v70, -v70, v70, s[34:35]
	s_waitcnt lgkmcnt(0)
	v_pk_add_f32 v[70:71], v[70:71], v[78:79]
	v_pk_add_f32 v[68:69], v[68:69], v[76:77]
	ds_bpermute_b32 v76, v129, v72
	ds_bpermute_b32 v77, v129, v73
	ds_bpermute_b32 v78, v129, v74
	ds_bpermute_b32 v79, v129, v75
	v_cndmask_b32_e64 v73, -v73, v73, s[30:31]
	v_cndmask_b32_e64 v72, -v72, v72, s[30:31]
	v_cndmask_b32_e64 v75, -v75, v75, s[30:31]
	v_cndmask_b32_e64 v74, -v74, v74, s[30:31]
	s_waitcnt lgkmcnt(0)
	v_pk_add_f32 v[74:75], v[74:75], v[78:79]
	v_pk_add_f32 v[72:73], v[72:73], v[76:77]
	ds_bpermute_b32 v80, v130, v72
	ds_bpermute_b32 v81, v130, v73
	;; [unrolled: 1-line block ×4, first 2 shown]
	ds_read_b128 v[76:79], v143 offset:16384
	v_cndmask_b32_e64 v73, -v73, v73, s[34:35]
	v_cndmask_b32_e64 v72, -v72, v72, s[34:35]
	;; [unrolled: 1-line block ×4, first 2 shown]
	s_waitcnt lgkmcnt(1)
	v_pk_add_f32 v[74:75], v[74:75], v[82:83]
	v_pk_add_f32 v[72:73], v[72:73], v[80:81]
	ds_read_b128 v[80:83], v143 offset:20480
	s_waitcnt lgkmcnt(1)
	ds_bpermute_b32 v92, v129, v76
	ds_bpermute_b32 v93, v129, v77
	ds_bpermute_b32 v94, v129, v78
	ds_bpermute_b32 v95, v129, v79
	v_cndmask_b32_e64 v77, -v77, v77, s[30:31]
	v_cndmask_b32_e64 v76, -v76, v76, s[30:31]
	v_cndmask_b32_e64 v79, -v79, v79, s[30:31]
	v_cndmask_b32_e64 v78, -v78, v78, s[30:31]
	s_waitcnt lgkmcnt(0)
	v_pk_add_f32 v[78:79], v[78:79], v[94:95]
	v_pk_add_f32 v[76:77], v[76:77], v[92:93]
	ds_bpermute_b32 v92, v130, v76
	ds_bpermute_b32 v93, v130, v77
	ds_bpermute_b32 v94, v130, v78
	ds_bpermute_b32 v95, v130, v79
	v_cndmask_b32_e64 v77, -v77, v77, s[34:35]
	v_cndmask_b32_e64 v76, -v76, v76, s[34:35]
	v_cndmask_b32_e64 v79, -v79, v79, s[34:35]
	v_cndmask_b32_e64 v78, -v78, v78, s[34:35]
	s_waitcnt lgkmcnt(0)
	v_pk_add_f32 v[78:79], v[78:79], v[94:95]
	v_pk_add_f32 v[76:77], v[76:77], v[92:93]
	;; [unrolled: 11-line block ×3, first 2 shown]
	ds_bpermute_b32 v120, v130, v80
	ds_bpermute_b32 v121, v130, v81
	;; [unrolled: 1-line block ×4, first 2 shown]
	v_cndmask_b32_e64 v81, -v81, v81, s[34:35]
	v_cndmask_b32_e64 v80, -v80, v80, s[34:35]
	;; [unrolled: 1-line block ×4, first 2 shown]
	ds_read_b128 v[92:95], v143 offset:24576
	s_waitcnt lgkmcnt(1)
	v_pk_add_f32 v[82:83], v[82:83], v[122:123]
	v_pk_add_f32 v[80:81], v[80:81], v[120:121]
	ds_read_b128 v[120:123], v143 offset:28672
	s_waitcnt lgkmcnt(0)
	s_barrier
	ds_write_b128 v142, v[84:87]
	ds_write_b128 v142, v[88:91] offset:4096
	ds_write_b128 v142, v[96:99] offset:8192
	;; [unrolled: 1-line block ×7, first 2 shown]
	s_waitcnt lgkmcnt(0)
	s_barrier
	ds_read_b128 v[88:91], v143
	ds_read_b128 v[96:99], v143 offset:4096
	ds_bpermute_b32 v124, v129, v92
	ds_bpermute_b32 v125, v129, v93
	;; [unrolled: 1-line block ×3, first 2 shown]
	s_waitcnt lgkmcnt(4)
	ds_bpermute_b32 v100, v129, v88
	ds_bpermute_b32 v101, v129, v89
	ds_bpermute_b32 v102, v129, v90
	ds_bpermute_b32 v103, v129, v91
	v_cndmask_b32_e64 v89, -v89, v89, s[30:31]
	v_cndmask_b32_e64 v88, -v88, v88, s[30:31]
	v_cndmask_b32_e64 v91, -v91, v91, s[30:31]
	v_cndmask_b32_e64 v90, -v90, v90, s[30:31]
	s_waitcnt lgkmcnt(0)
	v_pk_add_f32 v[90:91], v[90:91], v[102:103]
	v_pk_add_f32 v[88:89], v[88:89], v[100:101]
	ds_bpermute_b32 v100, v130, v88
	ds_bpermute_b32 v101, v130, v89
	ds_bpermute_b32 v102, v130, v90
	ds_bpermute_b32 v103, v130, v91
	v_cndmask_b32_e64 v89, -v89, v89, s[34:35]
	v_cndmask_b32_e64 v88, -v88, v88, s[34:35]
	v_cndmask_b32_e64 v91, -v91, v91, s[34:35]
	v_cndmask_b32_e64 v90, -v90, v90, s[34:35]
	s_waitcnt lgkmcnt(0)
	v_pk_add_f32 v[90:91], v[90:91], v[102:103]
	v_pk_add_f32 v[88:89], v[88:89], v[100:101]
	;; [unrolled: 11-line block ×3, first 2 shown]
	ds_bpermute_b32 v104, v130, v96
	ds_bpermute_b32 v105, v130, v97
	;; [unrolled: 1-line block ×4, first 2 shown]
	ds_read_b128 v[100:103], v143 offset:8192
	v_cndmask_b32_e64 v97, -v97, v97, s[34:35]
	v_cndmask_b32_e64 v96, -v96, v96, s[34:35]
	;; [unrolled: 1-line block ×4, first 2 shown]
	s_waitcnt lgkmcnt(1)
	v_pk_add_f32 v[98:99], v[98:99], v[106:107]
	v_pk_add_f32 v[96:97], v[96:97], v[104:105]
	ds_read_b128 v[104:107], v143 offset:12288
	s_waitcnt lgkmcnt(1)
	ds_bpermute_b32 v108, v129, v100
	ds_bpermute_b32 v109, v129, v101
	ds_bpermute_b32 v110, v129, v102
	ds_bpermute_b32 v111, v129, v103
	v_cndmask_b32_e64 v101, -v101, v101, s[30:31]
	v_cndmask_b32_e64 v100, -v100, v100, s[30:31]
	v_cndmask_b32_e64 v103, -v103, v103, s[30:31]
	v_cndmask_b32_e64 v102, -v102, v102, s[30:31]
	s_waitcnt lgkmcnt(0)
	v_pk_add_f32 v[102:103], v[102:103], v[110:111]
	v_pk_add_f32 v[100:101], v[100:101], v[108:109]
	ds_bpermute_b32 v108, v130, v100
	ds_bpermute_b32 v109, v130, v101
	ds_bpermute_b32 v110, v130, v102
	ds_bpermute_b32 v111, v130, v103
	v_cndmask_b32_e64 v101, -v101, v101, s[34:35]
	v_cndmask_b32_e64 v100, -v100, v100, s[34:35]
	v_cndmask_b32_e64 v103, -v103, v103, s[34:35]
	v_cndmask_b32_e64 v102, -v102, v102, s[34:35]
	s_waitcnt lgkmcnt(0)
	v_pk_add_f32 v[102:103], v[102:103], v[110:111]
	v_pk_add_f32 v[100:101], v[100:101], v[108:109]
	;; [unrolled: 11-line block ×3, first 2 shown]
	ds_bpermute_b32 v127, v129, v95
	ds_bpermute_b32 v112, v130, v104
	;; [unrolled: 1-line block ×5, first 2 shown]
	ds_read_b128 v[108:111], v143 offset:16384
	v_cndmask_b32_e64 v93, -v93, v93, s[30:31]
	v_cndmask_b32_e64 v92, -v92, v92, s[30:31]
	;; [unrolled: 1-line block ×8, first 2 shown]
	s_waitcnt lgkmcnt(5)
	v_pk_add_f32 v[94:95], v[94:95], v[126:127]
	v_pk_add_f32 v[92:93], v[92:93], v[124:125]
	s_waitcnt lgkmcnt(1)
	v_pk_add_f32 v[106:107], v[106:107], v[114:115]
	v_pk_add_f32 v[104:105], v[104:105], v[112:113]
	ds_read_b128 v[112:115], v143 offset:20480
	s_waitcnt lgkmcnt(1)
	ds_bpermute_b32 v116, v129, v108
	ds_bpermute_b32 v117, v129, v109
	ds_bpermute_b32 v118, v129, v110
	ds_bpermute_b32 v119, v129, v111
	ds_bpermute_b32 v124, v130, v92
	ds_bpermute_b32 v125, v130, v93
	ds_bpermute_b32 v126, v130, v94
	ds_bpermute_b32 v127, v130, v95
	v_cndmask_b32_e64 v109, -v109, v109, s[30:31]
	v_cndmask_b32_e64 v108, -v108, v108, s[30:31]
	v_cndmask_b32_e64 v111, -v111, v111, s[30:31]
	v_cndmask_b32_e64 v110, -v110, v110, s[30:31]
	v_cndmask_b32_e64 v93, -v93, v93, s[34:35]
	v_cndmask_b32_e64 v92, -v92, v92, s[34:35]
	v_cndmask_b32_e64 v95, -v95, v95, s[34:35]
	v_cndmask_b32_e64 v94, -v94, v94, s[34:35]
	s_waitcnt lgkmcnt(4)
	v_pk_add_f32 v[110:111], v[110:111], v[118:119]
	v_pk_add_f32 v[108:109], v[108:109], v[116:117]
	s_waitcnt lgkmcnt(0)
	v_pk_add_f32 v[94:95], v[94:95], v[126:127]
	v_pk_add_f32 v[92:93], v[92:93], v[124:125]
	ds_bpermute_b32 v124, v129, v120
	ds_bpermute_b32 v125, v129, v121
	ds_bpermute_b32 v126, v129, v122
	ds_bpermute_b32 v127, v129, v123
	ds_bpermute_b32 v116, v130, v108
	ds_bpermute_b32 v117, v130, v109
	ds_bpermute_b32 v118, v130, v110
	ds_bpermute_b32 v119, v130, v111
	v_cndmask_b32_e64 v121, -v121, v121, s[30:31]
	v_cndmask_b32_e64 v120, -v120, v120, s[30:31]
	v_cndmask_b32_e64 v123, -v123, v123, s[30:31]
	v_cndmask_b32_e64 v122, -v122, v122, s[30:31]
	v_cndmask_b32_e64 v109, -v109, v109, s[34:35]
	v_cndmask_b32_e64 v108, -v108, v108, s[34:35]
	v_cndmask_b32_e64 v111, -v111, v111, s[34:35]
	v_cndmask_b32_e64 v110, -v110, v110, s[34:35]
	s_waitcnt lgkmcnt(4)
	v_pk_add_f32 v[122:123], v[122:123], v[126:127]
	v_pk_add_f32 v[120:121], v[120:121], v[124:125]
	s_waitcnt lgkmcnt(0)
	v_pk_add_f32 v[110:111], v[110:111], v[118:119]
	v_pk_add_f32 v[108:109], v[108:109], v[116:117]
	;; [unrolled: 22-line block ×3, first 2 shown]
	ds_bpermute_b32 v120, v130, v112
	ds_bpermute_b32 v121, v130, v113
	ds_bpermute_b32 v122, v130, v114
	ds_bpermute_b32 v123, v130, v115
	ds_read_b128 v[116:119], v143 offset:24576
	v_cndmask_b32_e64 v113, -v113, v113, s[34:35]
	v_cndmask_b32_e64 v112, -v112, v112, s[34:35]
	;; [unrolled: 1-line block ×4, first 2 shown]
	s_waitcnt lgkmcnt(1)
	v_pk_add_f32 v[114:115], v[114:115], v[122:123]
	v_pk_add_f32 v[112:113], v[112:113], v[120:121]
	ds_read_b128 v[120:123], v143 offset:28672
	s_waitcnt lgkmcnt(1)
	ds_bpermute_b32 v124, v129, v116
	ds_bpermute_b32 v125, v129, v117
	;; [unrolled: 1-line block ×4, first 2 shown]
	v_cndmask_b32_e64 v117, -v117, v117, s[30:31]
	v_cndmask_b32_e64 v116, -v116, v116, s[30:31]
	;; [unrolled: 1-line block ×4, first 2 shown]
	s_waitcnt lgkmcnt(2)
	v_pk_add_f32 v[116:117], v[116:117], v[124:125]
	s_waitcnt lgkmcnt(0)
	v_pk_add_f32 v[118:119], v[118:119], v[126:127]
	ds_bpermute_b32 v124, v130, v116
	ds_bpermute_b32 v125, v130, v117
	;; [unrolled: 1-line block ×4, first 2 shown]
	v_cndmask_b32_e64 v117, -v117, v117, s[34:35]
	v_cndmask_b32_e64 v116, -v116, v116, s[34:35]
	v_cndmask_b32_e64 v119, -v119, v119, s[34:35]
	v_cndmask_b32_e64 v118, -v118, v118, s[34:35]
	s_waitcnt lgkmcnt(2)
	v_pk_add_f32 v[116:117], v[116:117], v[124:125]
	ds_bpermute_b32 v124, v129, v120
	ds_bpermute_b32 v125, v129, v121
	s_waitcnt lgkmcnt(2)
	v_pk_add_f32 v[118:119], v[118:119], v[126:127]
	ds_bpermute_b32 v126, v129, v122
	ds_bpermute_b32 v127, v129, v123
	v_cndmask_b32_e64 v121, -v121, v121, s[30:31]
	v_cndmask_b32_e64 v120, -v120, v120, s[30:31]
	;; [unrolled: 1-line block ×4, first 2 shown]
	s_waitcnt lgkmcnt(2)
	v_pk_add_f32 v[120:121], v[120:121], v[124:125]
	s_waitcnt lgkmcnt(0)
	v_pk_add_f32 v[126:127], v[122:123], v[126:127]
	ds_bpermute_b32 v124, v130, v120
	ds_bpermute_b32 v125, v130, v121
	v_cndmask_b32_e64 v149, -v121, v121, s[34:35]
	v_cndmask_b32_e64 v148, -v120, v120, s[34:35]
	v_pk_add_f32 v[120:121], v[140:141], v[138:139]
	v_pk_add_f32 v[122:123], v[136:137], v[134:135]
	ds_bpermute_b32 v134, v130, v122
	ds_bpermute_b32 v135, v130, v123
	ds_bpermute_b32 v136, v130, v120
	ds_bpermute_b32 v137, v130, v121
	v_cndmask_b32_e64 v123, -v123, v123, s[34:35]
	v_cndmask_b32_e64 v122, -v122, v122, s[34:35]
	v_cndmask_b32_e64 v121, -v121, v121, s[34:35]
	v_cndmask_b32_e64 v120, -v120, v120, s[34:35]
	s_waitcnt lgkmcnt(0)
	v_pk_add_f32 v[120:121], v[120:121], v[136:137]
	v_pk_add_f32 v[122:123], v[122:123], v[134:135]
	ds_bpermute_b32 v134, v131, v122
	ds_bpermute_b32 v135, v131, v123
	ds_bpermute_b32 v136, v131, v120
	ds_bpermute_b32 v137, v131, v121
	v_cndmask_b32_e64 v123, -v123, v123, s[36:37]
	v_cndmask_b32_e64 v122, -v122, v122, s[36:37]
	v_cndmask_b32_e64 v121, -v121, v121, s[36:37]
	v_cndmask_b32_e64 v120, -v120, v120, s[36:37]
	s_waitcnt lgkmcnt(0)
	;; [unrolled: 11-line block ×5, first 2 shown]
	v_pk_add_f32 v[122:123], v[120:121], v[134:135]
	v_pk_add_f32 v[120:121], v[136:137], v[132:133]
	s_barrier
	ds_write_b128 v142, v[120:123]
	ds_write_b128 v142, v[8:11] offset:4096
	ds_write_b128 v142, v[16:19] offset:8192
	;; [unrolled: 1-line block ×7, first 2 shown]
	s_waitcnt lgkmcnt(0)
	s_barrier
	ds_read_b128 v[16:19], v143
	ds_read_b128 v[24:27], v143 offset:4096
	ds_read_b128 v[120:123], v143 offset:20480
	ds_bpermute_b32 v146, v130, v126
	ds_bpermute_b32 v147, v130, v127
	s_waitcnt lgkmcnt(4)
	ds_bpermute_b32 v32, v129, v16
	ds_bpermute_b32 v33, v129, v17
	ds_bpermute_b32 v34, v129, v18
	ds_bpermute_b32 v35, v129, v19
	v_cndmask_b32_e64 v17, -v17, v17, s[30:31]
	v_cndmask_b32_e64 v16, -v16, v16, s[30:31]
	v_cndmask_b32_e64 v19, -v19, v19, s[30:31]
	v_cndmask_b32_e64 v18, -v18, v18, s[30:31]
	s_waitcnt lgkmcnt(0)
	v_pk_add_f32 v[18:19], v[18:19], v[34:35]
	v_pk_add_f32 v[16:17], v[16:17], v[32:33]
	ds_bpermute_b32 v32, v130, v16
	ds_bpermute_b32 v33, v130, v17
	ds_bpermute_b32 v34, v130, v18
	ds_bpermute_b32 v35, v130, v19
	v_cndmask_b32_e64 v17, -v17, v17, s[34:35]
	v_cndmask_b32_e64 v16, -v16, v16, s[34:35]
	v_cndmask_b32_e64 v19, -v19, v19, s[34:35]
	v_cndmask_b32_e64 v18, -v18, v18, s[34:35]
	s_waitcnt lgkmcnt(0)
	v_pk_add_f32 v[18:19], v[18:19], v[34:35]
	v_pk_add_f32 v[16:17], v[16:17], v[32:33]
	;; [unrolled: 11-line block ×3, first 2 shown]
	ds_bpermute_b32 v40, v130, v24
	ds_bpermute_b32 v41, v130, v25
	;; [unrolled: 1-line block ×4, first 2 shown]
	ds_read_b128 v[32:35], v143 offset:8192
	v_cndmask_b32_e64 v25, -v25, v25, s[34:35]
	v_cndmask_b32_e64 v24, -v24, v24, s[34:35]
	;; [unrolled: 1-line block ×4, first 2 shown]
	s_waitcnt lgkmcnt(1)
	v_pk_add_f32 v[26:27], v[26:27], v[42:43]
	v_pk_add_f32 v[24:25], v[24:25], v[40:41]
	ds_read_b128 v[40:43], v143 offset:12288
	s_waitcnt lgkmcnt(1)
	ds_bpermute_b32 v48, v129, v32
	ds_bpermute_b32 v49, v129, v33
	ds_bpermute_b32 v50, v129, v34
	ds_bpermute_b32 v51, v129, v35
	v_cndmask_b32_e64 v33, -v33, v33, s[30:31]
	v_cndmask_b32_e64 v32, -v32, v32, s[30:31]
	v_cndmask_b32_e64 v35, -v35, v35, s[30:31]
	v_cndmask_b32_e64 v34, -v34, v34, s[30:31]
	s_waitcnt lgkmcnt(0)
	v_pk_add_f32 v[34:35], v[34:35], v[50:51]
	v_pk_add_f32 v[32:33], v[32:33], v[48:49]
	ds_bpermute_b32 v48, v130, v32
	ds_bpermute_b32 v49, v130, v33
	ds_bpermute_b32 v50, v130, v34
	ds_bpermute_b32 v51, v130, v35
	v_cndmask_b32_e64 v33, -v33, v33, s[34:35]
	v_cndmask_b32_e64 v32, -v32, v32, s[34:35]
	v_cndmask_b32_e64 v35, -v35, v35, s[34:35]
	v_cndmask_b32_e64 v34, -v34, v34, s[34:35]
	s_waitcnt lgkmcnt(0)
	v_pk_add_f32 v[34:35], v[34:35], v[50:51]
	v_pk_add_f32 v[32:33], v[32:33], v[48:49]
	;; [unrolled: 11-line block ×3, first 2 shown]
	ds_bpermute_b32 v56, v130, v40
	ds_bpermute_b32 v57, v130, v41
	;; [unrolled: 1-line block ×4, first 2 shown]
	ds_read_b128 v[48:51], v143 offset:16384
	v_cndmask_b32_e64 v41, -v41, v41, s[34:35]
	v_cndmask_b32_e64 v40, -v40, v40, s[34:35]
	v_cndmask_b32_e64 v43, -v43, v43, s[34:35]
	v_cndmask_b32_e64 v42, -v42, v42, s[34:35]
	s_waitcnt lgkmcnt(1)
	v_pk_add_f32 v[42:43], v[42:43], v[58:59]
	v_pk_add_f32 v[40:41], v[40:41], v[56:57]
	s_waitcnt lgkmcnt(0)
	ds_bpermute_b32 v56, v129, v48
	ds_bpermute_b32 v57, v129, v49
	;; [unrolled: 1-line block ×4, first 2 shown]
	v_cndmask_b32_e64 v49, -v49, v49, s[30:31]
	v_cndmask_b32_e64 v48, -v48, v48, s[30:31]
	;; [unrolled: 1-line block ×4, first 2 shown]
	s_waitcnt lgkmcnt(0)
	v_pk_add_f32 v[50:51], v[50:51], v[58:59]
	v_pk_add_f32 v[48:49], v[48:49], v[56:57]
	ds_bpermute_b32 v56, v130, v48
	ds_bpermute_b32 v57, v130, v49
	;; [unrolled: 1-line block ×4, first 2 shown]
	v_cndmask_b32_e64 v49, -v49, v49, s[34:35]
	v_cndmask_b32_e64 v48, -v48, v48, s[34:35]
	;; [unrolled: 1-line block ×4, first 2 shown]
	s_waitcnt lgkmcnt(0)
	v_pk_add_f32 v[58:59], v[50:51], v[58:59]
	v_pk_add_f32 v[56:57], v[48:49], v[56:57]
	ds_bpermute_b32 v48, v129, v120
	ds_bpermute_b32 v49, v129, v121
	;; [unrolled: 1-line block ×4, first 2 shown]
	v_cndmask_b32_e64 v121, -v121, v121, s[30:31]
	v_cndmask_b32_e64 v120, -v120, v120, s[30:31]
	;; [unrolled: 1-line block ×6, first 2 shown]
	s_waitcnt lgkmcnt(0)
	v_pk_add_f32 v[122:123], v[122:123], v[50:51]
	v_pk_add_f32 v[48:49], v[120:121], v[48:49]
	;; [unrolled: 1-line block ×4, first 2 shown]
	ds_bpermute_b32 v120, v130, v48
	ds_bpermute_b32 v121, v130, v49
	;; [unrolled: 1-line block ×4, first 2 shown]
	v_cndmask_b32_e64 v127, -v49, v49, s[34:35]
	v_cndmask_b32_e64 v126, -v48, v48, s[34:35]
	ds_read_b128 v[48:51], v143 offset:24576
	v_cndmask_b32_e64 v123, -v123, v123, s[34:35]
	v_cndmask_b32_e64 v122, -v122, v122, s[34:35]
	s_waitcnt lgkmcnt(1)
	v_pk_add_f32 v[122:123], v[122:123], v[124:125]
	v_pk_add_f32 v[120:121], v[126:127], v[120:121]
	ds_read_b128 v[124:127], v143 offset:28672
	s_waitcnt lgkmcnt(1)
	ds_bpermute_b32 v132, v129, v48
	ds_bpermute_b32 v133, v129, v49
	ds_bpermute_b32 v134, v129, v50
	ds_bpermute_b32 v135, v129, v51
	v_cndmask_b32_e64 v49, -v49, v49, s[30:31]
	v_cndmask_b32_e64 v48, -v48, v48, s[30:31]
	v_cndmask_b32_e64 v51, -v51, v51, s[30:31]
	v_cndmask_b32_e64 v50, -v50, v50, s[30:31]
	s_waitcnt lgkmcnt(0)
	v_pk_add_f32 v[50:51], v[50:51], v[134:135]
	v_pk_add_f32 v[48:49], v[48:49], v[132:133]
	ds_bpermute_b32 v132, v130, v48
	ds_bpermute_b32 v133, v130, v49
	ds_bpermute_b32 v134, v130, v50
	ds_bpermute_b32 v135, v130, v51
	v_cndmask_b32_e64 v49, -v49, v49, s[34:35]
	v_cndmask_b32_e64 v48, -v48, v48, s[34:35]
	v_cndmask_b32_e64 v51, -v51, v51, s[34:35]
	v_cndmask_b32_e64 v50, -v50, v50, s[34:35]
	s_waitcnt lgkmcnt(0)
	v_pk_add_f32 v[134:135], v[50:51], v[134:135]
	v_pk_add_f32 v[132:133], v[48:49], v[132:133]
	;; [unrolled: 11-line block ×4, first 2 shown]
	s_barrier
	ds_write_b128 v143, v[0:3]
	ds_write_b128 v143, v[4:7] offset:4096
	ds_write_b128 v143, v[12:15] offset:8192
	ds_write_b128 v143, v[20:23] offset:12288
	ds_write_b128 v143, v[28:31] offset:16384
	ds_write_b128 v143, v[36:39] offset:20480
	ds_write_b128 v143, v[44:47] offset:24576
	ds_write_b128 v143, v[52:55] offset:28672
	s_waitcnt lgkmcnt(0)
	s_barrier
	ds_read_b128 v[28:31], v142
	ds_read_b128 v[0:3], v142 offset:4096
	ds_read_b128 v[44:47], v142 offset:8192
	ds_read_b128 v[12:15], v142 offset:12288
	ds_read_b128 v[36:39], v142 offset:16384
	ds_read_b128 v[4:7], v142 offset:20480
	ds_read_b128 v[48:51], v142 offset:24576
	ds_read_b128 v[20:23], v142 offset:28672
	s_waitcnt lgkmcnt(0)
	s_barrier
	ds_write_b128 v143, v[60:63]
	ds_write_b128 v143, v[64:67] offset:4096
	ds_write_b128 v143, v[68:71] offset:8192
	ds_write_b128 v143, v[72:75] offset:12288
	ds_write_b128 v143, v[76:79] offset:16384
	ds_write_b128 v143, v[80:83] offset:20480
	ds_write_b128 v143, v[92:95] offset:24576
	ds_write_b128 v143, v[84:87] offset:28672
	s_waitcnt lgkmcnt(0)
	s_barrier
	ds_read_b128 v[80:83], v142
	ds_read_b128 v[68:71], v142 offset:4096
	ds_read_b128 v[84:87], v142 offset:8192
	ds_read_b128 v[76:79], v142 offset:12288
	ds_read_b128 v[64:67], v142 offset:16384
	ds_read_b128 v[52:55], v142 offset:20480
	ds_read_b128 v[72:75], v142 offset:24576
	ds_read_b128 v[60:63], v142 offset:28672
	s_waitcnt lgkmcnt(0)
	;; [unrolled: 20-line block ×3, first 2 shown]
	s_barrier
	ds_write_b128 v143, v[16:19]
	ds_write_b128 v143, v[24:27] offset:4096
	ds_write_b128 v143, v[32:35] offset:8192
	;; [unrolled: 1-line block ×7, first 2 shown]
	s_waitcnt lgkmcnt(0)
	s_barrier
	ds_read_b128 v[120:123], v142
	ds_read_b128 v[40:43], v142 offset:4096
	ds_read_b128 v[124:127], v142 offset:8192
	ds_read_b128 v[116:119], v142 offset:12288
	ds_read_b128 v[32:35], v142 offset:16384
	ds_read_b128 v[16:19], v142 offset:20480
	ds_read_b128 v[56:59], v142 offset:24576
	ds_read_b128 v[24:27], v142 offset:28672
	v_pk_add_f32 v[184:185], v[30:31], v[46:47]
	v_pk_add_f32 v[188:189], v[38:39], v[50:51]
	;; [unrolled: 1-line block ×13, first 2 shown]
	v_accvgpr_write_b32 a16, v130
	v_pk_add_f32 v[200:201], v[110:111], v[114:115]
	v_pk_add_f32 v[204:205], v[94:95], v[102:103]
	s_waitcnt lgkmcnt(5)
	v_pk_add_f32 v[210:211], v[122:123], v[126:127]
	s_waitcnt lgkmcnt(1)
	v_pk_add_f32 v[218:219], v[34:35], v[58:59]
	v_accvgpr_write_b32 a17, v131
	v_pk_add_f32 v[130:131], v[154:155], v[162:163]
	v_pk_add_f32 v[152:153], v[200:201], v[204:205]
	v_pk_add_f32 v[160:161], v[210:211], v[218:219]
	v_accvgpr_write_b32 a18, v130
	v_pk_add_f32 v[198:199], v[108:109], v[112:113]
	v_pk_add_f32 v[202:203], v[92:93], v[100:101]
	v_pk_add_f32 v[206:207], v[120:121], v[124:125]
	v_pk_add_f32 v[214:215], v[32:33], v[56:57]
	v_accvgpr_write_b32 a19, v131
	v_pk_add_f32 v[130:131], v[152:153], v[160:161]
	v_pk_add_f32 v[150:151], v[198:199], v[202:203]
	;; [unrolled: 1-line block ×3, first 2 shown]
	v_accvgpr_write_b32 a20, v130
	v_accvgpr_write_b32 a21, v131
	v_pk_add_f32 v[130:131], v[150:151], v[156:157]
	v_pk_add_f32 v[212:213], v[2:3], v[14:15]
	;; [unrolled: 1-line block ×5, first 2 shown]
	v_accvgpr_write_b32 a22, v130
	v_pk_add_f32 v[174:175], v[212:213], v[220:221]
	v_pk_add_f32 v[180:181], v[224:225], v[228:229]
	v_accvgpr_write_b32 a23, v131
	v_pk_add_f32 v[208:209], v[0:1], v[12:13]
	v_pk_add_f32 v[216:217], v[4:5], v[20:21]
	;; [unrolled: 1-line block ×7, first 2 shown]
	v_accvgpr_write_b32 a24, v130
	v_pk_add_f32 v[232:233], v[98:99], v[106:107]
	v_pk_add_f32 v[238:239], v[10:11], v[90:91]
	v_pk_add_f32 v[242:243], v[42:43], v[118:119]
	s_waitcnt lgkmcnt(0)
	v_pk_add_f32 v[132:133], v[18:19], v[26:27]
	v_accvgpr_write_b32 a25, v131
	v_pk_add_f32 v[130:131], v[170:171], v[178:179]
	v_pk_add_f32 v[168:169], v[232:233], v[238:239]
	v_pk_add_f32 v[176:177], v[242:243], v[132:133]
	v_accvgpr_write_b32 a26, v130
	s_mul_i32 s1, s55, s2
	v_pk_add_f32 v[230:231], v[96:97], v[104:105]
	v_pk_add_f32 v[236:237], v[8:9], v[88:89]
	;; [unrolled: 1-line block ×4, first 2 shown]
	v_accvgpr_write_b32 a27, v131
	v_pk_add_f32 v[130:131], v[168:169], v[176:177]
	s_add_i32 s1, s0, s1
	s_mul_i32 s0, s54, s2
	v_pk_add_f32 v[166:167], v[230:231], v[236:237]
	v_pk_add_f32 v[172:173], v[240:241], v[254:255]
	v_accvgpr_write_b32 a28, v130
	s_lshl_b64 s[0:1], s[0:1], 1
	v_accvgpr_write_b32 a29, v131
	v_pk_add_f32 v[130:131], v[166:167], v[172:173]
	s_add_u32 s0, s50, s0
	v_accvgpr_write_b32 a30, v130
	s_addc_u32 s1, s51, s1
	s_mov_b32 s49, s48
	v_accvgpr_write_b32 a31, v131
	s_and_saveexec_b64 s[2:3], s[28:29]
	s_cbranch_execz .LBB38_34
; %bb.33:
	v_accvgpr_read_b32 v131, a17
	v_accvgpr_read_b32 v135, a21
	;; [unrolled: 1-line block ×4, first 2 shown]
	v_pk_add_f32 v[130:131], v[130:131], v[134:135]
	v_accvgpr_read_b32 v135, a19
	v_accvgpr_read_b32 v137, a23
	;; [unrolled: 1-line block ×4, first 2 shown]
	v_pk_add_f32 v[134:135], v[134:135], v[136:137]
	v_accvgpr_read_b32 v137, a29
	v_pk_mul_f32 v[138:139], s[48:49], v[134:135]
	v_accvgpr_read_b32 v135, a25
	v_accvgpr_read_b32 v134, a24
	;; [unrolled: 1-line block ×3, first 2 shown]
	v_pk_add_f32 v[134:135], v[134:135], v[136:137]
	v_accvgpr_read_b32 v137, a27
	v_accvgpr_read_b32 v141, a31
	;; [unrolled: 1-line block ×4, first 2 shown]
	s_mov_b32 s28, s48
	s_mov_b32 s29, s48
	v_pk_add_f32 v[136:137], v[136:137], v[140:141]
	v_pk_mul_f32 v[130:131], s[28:29], v[130:131]
	v_pk_mul_f32 v[134:135], s[28:29], v[134:135]
	;; [unrolled: 1-line block ×3, first 2 shown]
	v_cvt_pk_bf16_f32 v137, v134, v135
	v_cvt_pk_bf16_f32 v135, v130, v131
	;; [unrolled: 1-line block ×4, first 2 shown]
	global_store_dwordx4 v128, v[134:137], s[0:1]
.LBB38_34:
	s_or_b64 exec, exec, s[2:3]
	v_sub_f32_e32 v235, v31, v47
	v_sub_f32_e32 v234, v30, v46
	;; [unrolled: 1-line block ×64, first 2 shown]
	v_pk_add_f32 v[44:45], v[234:235], v[244:245]
	v_pk_add_f32 v[48:49], v[46:47], v[50:51]
	;; [unrolled: 1-line block ×24, first 2 shown]
	s_and_saveexec_b64 s[2:3], s[26:27]
	s_cbranch_execz .LBB38_36
; %bb.35:
	v_pk_add_f32 v[18:19], v[2:3], v[6:7]
	v_pk_add_f32 v[16:17], v[0:1], v[4:5]
	s_mov_b32 s26, s48
	s_mov_b32 s27, s48
	v_pk_mul_f32 v[20:21], s[48:49], v[18:19]
	v_pk_add_f32 v[18:19], v[8:9], v[12:13]
	v_pk_add_f32 v[22:23], v[10:11], v[14:15]
	v_pk_mul_f32 v[16:17], s[26:27], v[16:17]
	v_pk_mul_f32 v[18:19], s[26:27], v[18:19]
	;; [unrolled: 1-line block ×3, first 2 shown]
	v_cvt_pk_bf16_f32 v19, v18, v19
	v_cvt_pk_bf16_f32 v17, v16, v17
	;; [unrolled: 1-line block ×4, first 2 shown]
	v_accvgpr_read_b32 v20, a14
	global_store_dwordx4 v20, v[16:19], s[0:1]
.LBB38_36:
	s_or_b64 exec, exec, s[2:3]
	v_sub_f32_e32 v99, v185, v189
	v_sub_f32_e32 v98, v184, v188
	;; [unrolled: 1-line block ×32, first 2 shown]
	v_pk_add_f32 v[16:17], v[98:99], v[106:107]
	v_pk_add_f32 v[18:19], v[96:97], v[104:105]
	;; [unrolled: 1-line block ×8, first 2 shown]
	s_and_saveexec_b64 s[2:3], s[24:25]
	s_cbranch_execz .LBB38_38
; %bb.37:
	v_pk_add_f32 v[182:183], v[18:19], v[22:23]
	v_pk_add_f32 v[132:133], v[16:17], v[20:21]
	s_mov_b32 s24, s48
	s_mov_b32 s25, s48
	v_pk_mul_f32 v[186:187], s[48:49], v[182:183]
	v_pk_add_f32 v[182:183], v[24:25], v[28:29]
	v_pk_add_f32 v[184:185], v[26:27], v[30:31]
	v_pk_mul_f32 v[132:133], s[24:25], v[132:133]
	v_pk_mul_f32 v[182:183], s[24:25], v[182:183]
	;; [unrolled: 1-line block ×3, first 2 shown]
	v_cvt_pk_bf16_f32 v185, v182, v183
	v_cvt_pk_bf16_f32 v183, v132, v133
	;; [unrolled: 1-line block ×4, first 2 shown]
	v_accvgpr_read_b32 v132, a13
	global_store_dwordx4 v132, v[182:185], s[0:1]
.LBB38_38:
	s_or_b64 exec, exec, s[2:3]
	v_sub_f32_e32 v187, v235, v245
	v_sub_f32_e32 v186, v234, v244
	;; [unrolled: 1-line block ×32, first 2 shown]
	v_pk_add_f32 v[32:33], v[186:187], v[196:197]
	v_pk_add_f32 v[34:35], v[184:185], v[194:195]
	;; [unrolled: 1-line block ×8, first 2 shown]
	s_and_saveexec_b64 s[2:3], s[20:21]
	s_cbranch_execz .LBB38_40
; %bb.39:
	v_pk_add_f32 v[60:61], v[34:35], v[42:43]
	v_pk_add_f32 v[58:59], v[32:33], v[38:39]
	s_mov_b32 s20, s48
	s_mov_b32 s21, s48
	v_pk_mul_f32 v[64:65], s[48:49], v[60:61]
	v_pk_add_f32 v[60:61], v[36:37], v[46:47]
	v_pk_add_f32 v[66:67], v[40:41], v[50:51]
	v_pk_mul_f32 v[58:59], s[20:21], v[58:59]
	v_pk_mul_f32 v[60:61], s[20:21], v[60:61]
	;; [unrolled: 1-line block ×3, first 2 shown]
	v_cvt_pk_bf16_f32 v61, v60, v61
	v_cvt_pk_bf16_f32 v59, v58, v59
	;; [unrolled: 1-line block ×4, first 2 shown]
	v_accvgpr_read_b32 v64, a11
	global_store_dwordx4 v64, v[58:61], s[0:1]
.LBB38_40:
	s_or_b64 exec, exec, s[2:3]
	s_nop 0
	v_sub_f32_e32 v61, v159, v165
	v_sub_f32_e32 v60, v158, v164
	;; [unrolled: 1-line block ×16, first 2 shown]
	s_and_saveexec_b64 s[2:3], s[14:15]
	s_cbranch_execz .LBB38_42
; %bb.41:
	v_pk_add_f32 v[146:147], v[66:67], v[76:77]
	v_pk_add_f32 v[144:145], v[60:61], v[70:71]
	s_mov_b32 s14, s48
	s_mov_b32 s15, s48
	v_pk_mul_f32 v[148:149], s[48:49], v[146:147]
	v_pk_add_f32 v[146:147], v[58:59], v[68:69]
	v_pk_add_f32 v[150:151], v[64:65], v[74:75]
	v_pk_mul_f32 v[144:145], s[14:15], v[144:145]
	v_pk_mul_f32 v[146:147], s[14:15], v[146:147]
	;; [unrolled: 1-line block ×3, first 2 shown]
	v_cvt_pk_bf16_f32 v147, v146, v147
	v_cvt_pk_bf16_f32 v145, v144, v145
	;; [unrolled: 1-line block ×4, first 2 shown]
	v_accvgpr_read_b32 v148, a9
	global_store_dwordx4 v148, v[144:147], s[0:1]
.LBB38_42:
	s_or_b64 exec, exec, s[2:3]
	v_sub_f32_e32 v53, v45, v53
	v_sub_f32_e32 v52, v44, v52
	;; [unrolled: 1-line block ×16, first 2 shown]
	s_and_saveexec_b64 s[2:3], s[8:9]
	s_cbranch_execz .LBB38_44
; %bb.43:
	v_pk_add_f32 v[82:83], v[54:55], v[78:79]
	v_pk_add_f32 v[80:81], v[52:53], v[72:73]
	s_mov_b32 s8, s48
	s_mov_b32 s9, s48
	v_pk_mul_f32 v[84:85], s[48:49], v[82:83]
	v_pk_add_f32 v[82:83], v[44:45], v[56:57]
	v_pk_add_f32 v[86:87], v[48:49], v[62:63]
	v_pk_mul_f32 v[80:81], s[8:9], v[80:81]
	v_pk_mul_f32 v[82:83], s[8:9], v[82:83]
	;; [unrolled: 1-line block ×3, first 2 shown]
	v_cvt_pk_bf16_f32 v83, v82, v83
	v_cvt_pk_bf16_f32 v81, v80, v81
	;; [unrolled: 1-line block ×4, first 2 shown]
	v_accvgpr_read_b32 v84, a6
	global_store_dwordx4 v84, v[80:83], s[0:1]
.LBB38_44:
	s_or_b64 exec, exec, s[2:3]
	s_nop 0
	v_sub_f32_e32 v83, v99, v107
	v_sub_f32_e32 v82, v98, v106
	;; [unrolled: 1-line block ×16, first 2 shown]
	s_and_saveexec_b64 s[2:3], s[46:47]
	s_cbranch_execz .LBB38_46
; %bb.45:
	v_pk_add_f32 v[98:99], v[86:87], v[94:95]
	v_pk_add_f32 v[96:97], v[82:83], v[90:91]
	s_mov_b32 s8, s48
	s_mov_b32 s9, s48
	v_pk_mul_f32 v[100:101], s[48:49], v[98:99]
	v_pk_add_f32 v[98:99], v[80:81], v[88:89]
	v_pk_add_f32 v[102:103], v[84:85], v[92:93]
	v_pk_mul_f32 v[96:97], s[8:9], v[96:97]
	v_pk_mul_f32 v[98:99], s[8:9], v[98:99]
	;; [unrolled: 1-line block ×3, first 2 shown]
	v_cvt_pk_bf16_f32 v99, v98, v99
	v_cvt_pk_bf16_f32 v97, v96, v97
	;; [unrolled: 1-line block ×4, first 2 shown]
	v_accvgpr_read_b32 v100, a3
	global_store_dwordx4 v100, v[96:99], s[0:1]
.LBB38_46:
	s_or_b64 exec, exec, s[2:3]
	s_nop 0
	v_sub_f32_e32 v97, v187, v197
	v_sub_f32_e32 v96, v186, v196
	;; [unrolled: 1-line block ×16, first 2 shown]
	s_and_saveexec_b64 s[2:3], vcc
	s_cbranch_execnz .LBB38_56
; %bb.47:
	s_or_b64 exec, exec, s[2:3]
	s_and_saveexec_b64 s[2:3], s[44:45]
	s_cbranch_execnz .LBB38_57
.LBB38_48:
	s_or_b64 exec, exec, s[2:3]
	s_and_saveexec_b64 s[2:3], s[4:5]
	s_cbranch_execnz .LBB38_58
.LBB38_49:
	s_or_b64 exec, exec, s[2:3]
	s_and_saveexec_b64 s[2:3], s[6:7]
	s_cbranch_execnz .LBB38_59
.LBB38_50:
	s_or_b64 exec, exec, s[2:3]
	s_and_saveexec_b64 s[2:3], s[10:11]
	s_cbranch_execnz .LBB38_60
.LBB38_51:
	s_or_b64 exec, exec, s[2:3]
	s_and_saveexec_b64 s[2:3], s[12:13]
	s_cbranch_execnz .LBB38_61
.LBB38_52:
	s_or_b64 exec, exec, s[2:3]
	s_and_saveexec_b64 s[2:3], s[16:17]
	s_cbranch_execnz .LBB38_62
.LBB38_53:
	s_or_b64 exec, exec, s[2:3]
	s_and_saveexec_b64 s[2:3], s[18:19]
	s_cbranch_execnz .LBB38_63
.LBB38_54:
	s_or_b64 exec, exec, s[2:3]
	s_and_saveexec_b64 s[2:3], s[22:23]
	s_cbranch_execnz .LBB38_64
.LBB38_55:
	s_endpgm
.LBB38_56:
	v_pk_add_f32 v[114:115], v[100:101], v[108:109]
	v_pk_add_f32 v[112:113], v[96:97], v[104:105]
	s_mov_b32 s8, s48
	s_mov_b32 s9, s48
	v_pk_mul_f32 v[116:117], s[48:49], v[114:115]
	v_pk_add_f32 v[114:115], v[98:99], v[106:107]
	v_pk_add_f32 v[118:119], v[102:103], v[110:111]
	v_pk_mul_f32 v[112:113], s[8:9], v[112:113]
	v_pk_mul_f32 v[114:115], s[8:9], v[114:115]
	;; [unrolled: 1-line block ×3, first 2 shown]
	v_cvt_pk_bf16_f32 v115, v114, v115
	v_cvt_pk_bf16_f32 v113, v112, v113
	;; [unrolled: 1-line block ×4, first 2 shown]
	v_accvgpr_read_b32 v116, a0
	global_store_dwordx4 v116, v[112:115], s[0:1]
	s_or_b64 exec, exec, s[2:3]
	s_and_saveexec_b64 s[2:3], s[44:45]
	s_cbranch_execz .LBB38_48
.LBB38_57:
	v_accvgpr_read_b32 v113, a19
	v_accvgpr_read_b32 v115, a23
	;; [unrolled: 1-line block ×4, first 2 shown]
	v_sub_f32_e32 v113, v113, v115
	v_sub_f32_e32 v112, v112, v114
	v_accvgpr_read_b32 v115, a17
	v_accvgpr_read_b32 v117, a21
	;; [unrolled: 1-line block ×4, first 2 shown]
	v_sub_f32_e32 v115, v115, v117
	v_sub_f32_e32 v114, v114, v116
	s_mov_b32 s8, s48
	s_mov_b32 s9, s48
	v_pk_mul_f32 v[116:117], s[8:9], v[114:115]
	v_pk_mul_f32 v[118:119], s[48:49], v[112:113]
	v_accvgpr_read_b32 v113, a27
	v_accvgpr_read_b32 v115, a31
	;; [unrolled: 1-line block ×4, first 2 shown]
	v_sub_f32_e32 v113, v113, v115
	v_sub_f32_e32 v112, v112, v114
	v_accvgpr_read_b32 v115, a25
	v_accvgpr_read_b32 v121, a29
	;; [unrolled: 1-line block ×4, first 2 shown]
	v_sub_f32_e32 v115, v115, v121
	v_sub_f32_e32 v114, v114, v120
	v_pk_mul_f32 v[114:115], s[8:9], v[114:115]
	v_pk_mul_f32 v[112:113], s[48:49], v[112:113]
	v_cvt_pk_bf16_f32 v115, v114, v115
	v_cvt_pk_bf16_f32 v114, v112, v113
	;; [unrolled: 1-line block ×4, first 2 shown]
	v_accvgpr_read_b32 v116, a1
	global_store_dwordx4 v116, v[112:115], s[0:1]
	s_or_b64 exec, exec, s[2:3]
	s_and_saveexec_b64 s[2:3], s[4:5]
	s_cbranch_execz .LBB38_49
.LBB38_58:
	v_sub_f32_e32 v3, v3, v7
	v_sub_f32_e32 v2, v2, v6
	;; [unrolled: 1-line block ×4, first 2 shown]
	s_mov_b32 s4, s48
	s_mov_b32 s5, s48
	v_pk_mul_f32 v[4:5], s[48:49], v[2:3]
	v_sub_f32_e32 v3, v11, v15
	v_sub_f32_e32 v2, v10, v14
	;; [unrolled: 1-line block ×4, first 2 shown]
	v_pk_mul_f32 v[0:1], s[4:5], v[0:1]
	v_pk_mul_f32 v[6:7], s[4:5], v[6:7]
	;; [unrolled: 1-line block ×3, first 2 shown]
	v_cvt_pk_bf16_f32 v3, v6, v7
	v_cvt_pk_bf16_f32 v2, v8, v9
	;; [unrolled: 1-line block ×4, first 2 shown]
	v_accvgpr_read_b32 v4, a2
	global_store_dwordx4 v4, v[0:3], s[0:1]
	s_or_b64 exec, exec, s[2:3]
	s_and_saveexec_b64 s[2:3], s[6:7]
	s_cbranch_execz .LBB38_50
.LBB38_59:
	v_sub_f32_e32 v1, v19, v23
	v_sub_f32_e32 v0, v18, v22
	;; [unrolled: 1-line block ×4, first 2 shown]
	s_mov_b32 s4, s48
	s_mov_b32 s5, s48
	v_pk_mul_f32 v[4:5], s[4:5], v[2:3]
	v_pk_mul_f32 v[6:7], s[48:49], v[0:1]
	v_sub_f32_e32 v1, v27, v31
	v_sub_f32_e32 v0, v26, v30
	;; [unrolled: 1-line block ×4, first 2 shown]
	v_pk_mul_f32 v[2:3], s[4:5], v[2:3]
	v_pk_mul_f32 v[0:1], s[48:49], v[0:1]
	v_cvt_pk_bf16_f32 v3, v2, v3
	v_cvt_pk_bf16_f32 v2, v0, v1
	;; [unrolled: 1-line block ×4, first 2 shown]
	v_accvgpr_read_b32 v4, a4
	global_store_dwordx4 v4, v[0:3], s[0:1]
	s_or_b64 exec, exec, s[2:3]
	s_and_saveexec_b64 s[2:3], s[10:11]
	s_cbranch_execz .LBB38_51
.LBB38_60:
	v_sub_f32_e32 v1, v35, v43
	v_sub_f32_e32 v0, v34, v42
	;; [unrolled: 1-line block ×4, first 2 shown]
	s_mov_b32 s4, s48
	s_mov_b32 s5, s48
	v_pk_mul_f32 v[4:5], s[4:5], v[2:3]
	v_pk_mul_f32 v[6:7], s[48:49], v[0:1]
	v_sub_f32_e32 v1, v41, v51
	v_sub_f32_e32 v0, v40, v50
	;; [unrolled: 1-line block ×4, first 2 shown]
	v_pk_mul_f32 v[2:3], s[4:5], v[2:3]
	v_pk_mul_f32 v[0:1], s[48:49], v[0:1]
	v_cvt_pk_bf16_f32 v3, v2, v3
	v_cvt_pk_bf16_f32 v2, v0, v1
	v_cvt_pk_bf16_f32 v1, v4, v5
	v_cvt_pk_bf16_f32 v0, v6, v7
	v_accvgpr_read_b32 v4, a5
	global_store_dwordx4 v4, v[0:3], s[0:1]
	s_or_b64 exec, exec, s[2:3]
	s_and_saveexec_b64 s[2:3], s[12:13]
	s_cbranch_execz .LBB38_52
.LBB38_61:
	v_sub_f32_e32 v1, v67, v77
	v_sub_f32_e32 v0, v66, v76
	;; [unrolled: 1-line block ×4, first 2 shown]
	s_mov_b32 s4, s48
	s_mov_b32 s5, s48
	v_pk_mul_f32 v[4:5], s[4:5], v[2:3]
	v_pk_mul_f32 v[6:7], s[48:49], v[0:1]
	v_sub_f32_e32 v1, v65, v75
	v_sub_f32_e32 v0, v64, v74
	;; [unrolled: 1-line block ×4, first 2 shown]
	v_pk_mul_f32 v[2:3], s[4:5], v[2:3]
	v_pk_mul_f32 v[0:1], s[48:49], v[0:1]
	v_cvt_pk_bf16_f32 v3, v2, v3
	v_cvt_pk_bf16_f32 v2, v0, v1
	;; [unrolled: 1-line block ×4, first 2 shown]
	v_accvgpr_read_b32 v4, a7
	global_store_dwordx4 v4, v[0:3], s[0:1]
	s_or_b64 exec, exec, s[2:3]
	s_and_saveexec_b64 s[2:3], s[16:17]
	s_cbranch_execz .LBB38_53
.LBB38_62:
	v_sub_f32_e32 v1, v55, v79
	v_sub_f32_e32 v0, v54, v78
	;; [unrolled: 1-line block ×4, first 2 shown]
	s_mov_b32 s4, s48
	s_mov_b32 s5, s48
	v_pk_mul_f32 v[4:5], s[4:5], v[2:3]
	v_pk_mul_f32 v[6:7], s[48:49], v[0:1]
	v_sub_f32_e32 v1, v49, v63
	v_sub_f32_e32 v0, v48, v62
	;; [unrolled: 1-line block ×4, first 2 shown]
	v_pk_mul_f32 v[2:3], s[4:5], v[2:3]
	v_pk_mul_f32 v[0:1], s[48:49], v[0:1]
	v_accvgpr_read_b32 v8, a8
	v_mov_b32_e32 v9, 0
	v_lshl_add_u64 v[8:9], v[8:9], 4, s[0:1]
	v_cvt_pk_bf16_f32 v3, v2, v3
	v_cvt_pk_bf16_f32 v2, v0, v1
	v_cvt_pk_bf16_f32 v1, v4, v5
	v_cvt_pk_bf16_f32 v0, v6, v7
	global_store_dwordx4 v[8:9], v[0:3], off
	s_or_b64 exec, exec, s[2:3]
	s_and_saveexec_b64 s[2:3], s[18:19]
	s_cbranch_execz .LBB38_54
.LBB38_63:
	v_sub_f32_e32 v1, v87, v95
	v_sub_f32_e32 v0, v86, v94
	;; [unrolled: 1-line block ×4, first 2 shown]
	s_mov_b32 s4, s48
	s_mov_b32 s5, s48
	v_pk_mul_f32 v[4:5], s[4:5], v[2:3]
	v_pk_mul_f32 v[6:7], s[48:49], v[0:1]
	v_sub_f32_e32 v1, v85, v93
	v_sub_f32_e32 v0, v84, v92
	;; [unrolled: 1-line block ×4, first 2 shown]
	v_pk_mul_f32 v[2:3], s[4:5], v[2:3]
	v_pk_mul_f32 v[0:1], s[48:49], v[0:1]
	v_accvgpr_read_b32 v8, a10
	v_mov_b32_e32 v9, 0
	v_lshl_add_u64 v[8:9], v[8:9], 4, s[0:1]
	v_cvt_pk_bf16_f32 v3, v2, v3
	v_cvt_pk_bf16_f32 v2, v0, v1
	;; [unrolled: 1-line block ×4, first 2 shown]
	global_store_dwordx4 v[8:9], v[0:3], off
	s_or_b64 exec, exec, s[2:3]
	s_and_saveexec_b64 s[2:3], s[22:23]
	s_cbranch_execz .LBB38_55
.LBB38_64:
	v_sub_f32_e32 v1, v101, v109
	v_sub_f32_e32 v0, v100, v108
	;; [unrolled: 1-line block ×8, first 2 shown]
	s_mov_b32 s2, s48
	s_mov_b32 s3, s48
	v_pk_mul_f32 v[8:9], s[2:3], v[2:3]
	v_pk_mul_f32 v[10:11], s[48:49], v[0:1]
	;; [unrolled: 1-line block ×4, first 2 shown]
	v_accvgpr_read_b32 v2, a12
	v_mov_b32_e32 v3, 0
	v_lshl_add_u64 v[6:7], v[2:3], 4, s[0:1]
	v_cvt_pk_bf16_f32 v3, v0, v1
	v_cvt_pk_bf16_f32 v2, v4, v5
	;; [unrolled: 1-line block ×4, first 2 shown]
	global_store_dwordx4 v[6:7], v[0:3], off
	s_endpgm
	.section	.rodata,"a",@progbits
	.p2align	6, 0x0
	.amdhsa_kernel _Z30fast_hadamard_transform_kernelI37fast_hadamard_transform_kernel_traitsILi256ELi15E14__hip_bfloat16EEv18HadamardParamsBase
		.amdhsa_group_segment_fixed_size 0
		.amdhsa_private_segment_fixed_size 0
		.amdhsa_kernarg_size 312
		.amdhsa_user_sgpr_count 2
		.amdhsa_user_sgpr_dispatch_ptr 0
		.amdhsa_user_sgpr_queue_ptr 0
		.amdhsa_user_sgpr_kernarg_segment_ptr 1
		.amdhsa_user_sgpr_dispatch_id 0
		.amdhsa_user_sgpr_kernarg_preload_length 0
		.amdhsa_user_sgpr_kernarg_preload_offset 0
		.amdhsa_user_sgpr_private_segment_size 0
		.amdhsa_uses_dynamic_stack 0
		.amdhsa_enable_private_segment 0
		.amdhsa_system_sgpr_workgroup_id_x 1
		.amdhsa_system_sgpr_workgroup_id_y 0
		.amdhsa_system_sgpr_workgroup_id_z 0
		.amdhsa_system_sgpr_workgroup_info 0
		.amdhsa_system_vgpr_workitem_id 0
		.amdhsa_next_free_vgpr 288
		.amdhsa_next_free_sgpr 56
		.amdhsa_accum_offset 256
		.amdhsa_reserve_vcc 1
		.amdhsa_float_round_mode_32 0
		.amdhsa_float_round_mode_16_64 0
		.amdhsa_float_denorm_mode_32 3
		.amdhsa_float_denorm_mode_16_64 3
		.amdhsa_dx10_clamp 1
		.amdhsa_ieee_mode 1
		.amdhsa_fp16_overflow 0
		.amdhsa_tg_split 0
		.amdhsa_exception_fp_ieee_invalid_op 0
		.amdhsa_exception_fp_denorm_src 0
		.amdhsa_exception_fp_ieee_div_zero 0
		.amdhsa_exception_fp_ieee_overflow 0
		.amdhsa_exception_fp_ieee_underflow 0
		.amdhsa_exception_fp_ieee_inexact 0
		.amdhsa_exception_int_div_zero 0
	.end_amdhsa_kernel
	.section	.text._Z30fast_hadamard_transform_kernelI37fast_hadamard_transform_kernel_traitsILi256ELi15E14__hip_bfloat16EEv18HadamardParamsBase,"axG",@progbits,_Z30fast_hadamard_transform_kernelI37fast_hadamard_transform_kernel_traitsILi256ELi15E14__hip_bfloat16EEv18HadamardParamsBase,comdat
.Lfunc_end38:
	.size	_Z30fast_hadamard_transform_kernelI37fast_hadamard_transform_kernel_traitsILi256ELi15E14__hip_bfloat16EEv18HadamardParamsBase, .Lfunc_end38-_Z30fast_hadamard_transform_kernelI37fast_hadamard_transform_kernel_traitsILi256ELi15E14__hip_bfloat16EEv18HadamardParamsBase
                                        ; -- End function
	.set _Z30fast_hadamard_transform_kernelI37fast_hadamard_transform_kernel_traitsILi256ELi15E14__hip_bfloat16EEv18HadamardParamsBase.num_vgpr, 256
	.set _Z30fast_hadamard_transform_kernelI37fast_hadamard_transform_kernel_traitsILi256ELi15E14__hip_bfloat16EEv18HadamardParamsBase.num_agpr, 32
	.set _Z30fast_hadamard_transform_kernelI37fast_hadamard_transform_kernel_traitsILi256ELi15E14__hip_bfloat16EEv18HadamardParamsBase.numbered_sgpr, 56
	.set _Z30fast_hadamard_transform_kernelI37fast_hadamard_transform_kernel_traitsILi256ELi15E14__hip_bfloat16EEv18HadamardParamsBase.num_named_barrier, 0
	.set _Z30fast_hadamard_transform_kernelI37fast_hadamard_transform_kernel_traitsILi256ELi15E14__hip_bfloat16EEv18HadamardParamsBase.private_seg_size, 0
	.set _Z30fast_hadamard_transform_kernelI37fast_hadamard_transform_kernel_traitsILi256ELi15E14__hip_bfloat16EEv18HadamardParamsBase.uses_vcc, 1
	.set _Z30fast_hadamard_transform_kernelI37fast_hadamard_transform_kernel_traitsILi256ELi15E14__hip_bfloat16EEv18HadamardParamsBase.uses_flat_scratch, 0
	.set _Z30fast_hadamard_transform_kernelI37fast_hadamard_transform_kernel_traitsILi256ELi15E14__hip_bfloat16EEv18HadamardParamsBase.has_dyn_sized_stack, 0
	.set _Z30fast_hadamard_transform_kernelI37fast_hadamard_transform_kernel_traitsILi256ELi15E14__hip_bfloat16EEv18HadamardParamsBase.has_recursion, 0
	.set _Z30fast_hadamard_transform_kernelI37fast_hadamard_transform_kernel_traitsILi256ELi15E14__hip_bfloat16EEv18HadamardParamsBase.has_indirect_call, 0
	.section	.AMDGPU.csdata,"",@progbits
; Kernel info:
; codeLenInByte = 33384
; TotalNumSgprs: 62
; NumVgprs: 256
; NumAgprs: 32
; TotalNumVgprs: 288
; ScratchSize: 0
; MemoryBound: 0
; FloatMode: 240
; IeeeMode: 1
; LDSByteSize: 0 bytes/workgroup (compile time only)
; SGPRBlocks: 7
; VGPRBlocks: 35
; NumSGPRsForWavesPerEU: 62
; NumVGPRsForWavesPerEU: 288
; AccumOffset: 256
; Occupancy: 1
; WaveLimiterHint : 0
; COMPUTE_PGM_RSRC2:SCRATCH_EN: 0
; COMPUTE_PGM_RSRC2:USER_SGPR: 2
; COMPUTE_PGM_RSRC2:TRAP_HANDLER: 0
; COMPUTE_PGM_RSRC2:TGID_X_EN: 1
; COMPUTE_PGM_RSRC2:TGID_Y_EN: 0
; COMPUTE_PGM_RSRC2:TGID_Z_EN: 0
; COMPUTE_PGM_RSRC2:TIDIG_COMP_CNT: 0
; COMPUTE_PGM_RSRC3_GFX90A:ACCUM_OFFSET: 63
; COMPUTE_PGM_RSRC3_GFX90A:TG_SPLIT: 0
	.section	.AMDGPU.gpr_maximums,"",@progbits
	.set amdgpu.max_num_vgpr, 0
	.set amdgpu.max_num_agpr, 0
	.set amdgpu.max_num_sgpr, 0
	.section	.AMDGPU.csdata,"",@progbits
	.type	__hip_cuid_e8b6243d931b8b62,@object ; @__hip_cuid_e8b6243d931b8b62
	.section	.bss,"aw",@nobits
	.globl	__hip_cuid_e8b6243d931b8b62
__hip_cuid_e8b6243d931b8b62:
	.byte	0                               ; 0x0
	.size	__hip_cuid_e8b6243d931b8b62, 1

	.ident	"AMD clang version 22.0.0git (https://github.com/RadeonOpenCompute/llvm-project roc-7.2.4 26084 f58b06dce1f9c15707c5f808fd002e18c2accf7e)"
	.section	".note.GNU-stack","",@progbits
	.addrsig
	.addrsig_sym __hip_cuid_e8b6243d931b8b62
	.amdgpu_metadata
---
amdhsa.kernels:
  - .agpr_count:     0
    .args:
      - .offset:         0
        .size:           56
        .value_kind:     by_value
      - .offset:         56
        .size:           4
        .value_kind:     hidden_block_count_x
      - .offset:         60
        .size:           4
        .value_kind:     hidden_block_count_y
      - .offset:         64
        .size:           4
        .value_kind:     hidden_block_count_z
      - .offset:         68
        .size:           2
        .value_kind:     hidden_group_size_x
      - .offset:         70
        .size:           2
        .value_kind:     hidden_group_size_y
      - .offset:         72
        .size:           2
        .value_kind:     hidden_group_size_z
      - .offset:         74
        .size:           2
        .value_kind:     hidden_remainder_x
      - .offset:         76
        .size:           2
        .value_kind:     hidden_remainder_y
      - .offset:         78
        .size:           2
        .value_kind:     hidden_remainder_z
      - .offset:         96
        .size:           8
        .value_kind:     hidden_global_offset_x
      - .offset:         104
        .size:           8
        .value_kind:     hidden_global_offset_y
      - .offset:         112
        .size:           8
        .value_kind:     hidden_global_offset_z
      - .offset:         120
        .size:           2
        .value_kind:     hidden_grid_dims
    .group_segment_fixed_size: 0
    .kernarg_segment_align: 8
    .kernarg_segment_size: 312
    .language:       OpenCL C
    .language_version:
      - 2
      - 0
    .max_flat_workgroup_size: 1
    .name:           _Z30fast_hadamard_transform_kernelI37fast_hadamard_transform_kernel_traitsILi1ELi3EfEEv18HadamardParamsBase
    .private_segment_fixed_size: 0
    .sgpr_count:     36
    .sgpr_spill_count: 0
    .symbol:         _Z30fast_hadamard_transform_kernelI37fast_hadamard_transform_kernel_traitsILi1ELi3EfEEv18HadamardParamsBase.kd
    .uniform_work_group_size: 1
    .uses_dynamic_stack: false
    .vgpr_count:     20
    .vgpr_spill_count: 0
    .wavefront_size: 64
  - .agpr_count:     0
    .args:
      - .offset:         0
        .size:           56
        .value_kind:     by_value
      - .offset:         56
        .size:           4
        .value_kind:     hidden_block_count_x
      - .offset:         60
        .size:           4
        .value_kind:     hidden_block_count_y
      - .offset:         64
        .size:           4
        .value_kind:     hidden_block_count_z
      - .offset:         68
        .size:           2
        .value_kind:     hidden_group_size_x
      - .offset:         70
        .size:           2
        .value_kind:     hidden_group_size_y
      - .offset:         72
        .size:           2
        .value_kind:     hidden_group_size_z
      - .offset:         74
        .size:           2
        .value_kind:     hidden_remainder_x
      - .offset:         76
        .size:           2
        .value_kind:     hidden_remainder_y
      - .offset:         78
        .size:           2
        .value_kind:     hidden_remainder_z
      - .offset:         96
        .size:           8
        .value_kind:     hidden_global_offset_x
      - .offset:         104
        .size:           8
        .value_kind:     hidden_global_offset_y
      - .offset:         112
        .size:           8
        .value_kind:     hidden_global_offset_z
      - .offset:         120
        .size:           2
        .value_kind:     hidden_grid_dims
    .group_segment_fixed_size: 0
    .kernarg_segment_align: 8
    .kernarg_segment_size: 312
    .language:       OpenCL C
    .language_version:
      - 2
      - 0
    .max_flat_workgroup_size: 2
    .name:           _Z30fast_hadamard_transform_kernelI37fast_hadamard_transform_kernel_traitsILi2ELi4EfEEv18HadamardParamsBase
    .private_segment_fixed_size: 0
    .sgpr_count:     21
    .sgpr_spill_count: 0
    .symbol:         _Z30fast_hadamard_transform_kernelI37fast_hadamard_transform_kernel_traitsILi2ELi4EfEEv18HadamardParamsBase.kd
    .uniform_work_group_size: 1
    .uses_dynamic_stack: false
    .vgpr_count:     22
    .vgpr_spill_count: 0
    .wavefront_size: 64
  - .agpr_count:     0
    .args:
      - .offset:         0
        .size:           56
        .value_kind:     by_value
      - .offset:         56
        .size:           4
        .value_kind:     hidden_block_count_x
      - .offset:         60
        .size:           4
        .value_kind:     hidden_block_count_y
      - .offset:         64
        .size:           4
        .value_kind:     hidden_block_count_z
      - .offset:         68
        .size:           2
        .value_kind:     hidden_group_size_x
      - .offset:         70
        .size:           2
        .value_kind:     hidden_group_size_y
      - .offset:         72
        .size:           2
        .value_kind:     hidden_group_size_z
      - .offset:         74
        .size:           2
        .value_kind:     hidden_remainder_x
      - .offset:         76
        .size:           2
        .value_kind:     hidden_remainder_y
      - .offset:         78
        .size:           2
        .value_kind:     hidden_remainder_z
      - .offset:         96
        .size:           8
        .value_kind:     hidden_global_offset_x
      - .offset:         104
        .size:           8
        .value_kind:     hidden_global_offset_y
      - .offset:         112
        .size:           8
        .value_kind:     hidden_global_offset_z
      - .offset:         120
        .size:           2
        .value_kind:     hidden_grid_dims
    .group_segment_fixed_size: 0
    .kernarg_segment_align: 8
    .kernarg_segment_size: 312
    .language:       OpenCL C
    .language_version:
      - 2
      - 0
    .max_flat_workgroup_size: 4
    .name:           _Z30fast_hadamard_transform_kernelI37fast_hadamard_transform_kernel_traitsILi4ELi5EfEEv18HadamardParamsBase
    .private_segment_fixed_size: 0
    .sgpr_count:     23
    .sgpr_spill_count: 0
    .symbol:         _Z30fast_hadamard_transform_kernelI37fast_hadamard_transform_kernel_traitsILi4ELi5EfEEv18HadamardParamsBase.kd
    .uniform_work_group_size: 1
    .uses_dynamic_stack: false
    .vgpr_count:     24
    .vgpr_spill_count: 0
    .wavefront_size: 64
  - .agpr_count:     0
    .args:
      - .offset:         0
        .size:           56
        .value_kind:     by_value
      - .offset:         56
        .size:           4
        .value_kind:     hidden_block_count_x
      - .offset:         60
        .size:           4
        .value_kind:     hidden_block_count_y
      - .offset:         64
        .size:           4
        .value_kind:     hidden_block_count_z
      - .offset:         68
        .size:           2
        .value_kind:     hidden_group_size_x
      - .offset:         70
        .size:           2
        .value_kind:     hidden_group_size_y
      - .offset:         72
        .size:           2
        .value_kind:     hidden_group_size_z
      - .offset:         74
        .size:           2
        .value_kind:     hidden_remainder_x
      - .offset:         76
        .size:           2
        .value_kind:     hidden_remainder_y
      - .offset:         78
        .size:           2
        .value_kind:     hidden_remainder_z
      - .offset:         96
        .size:           8
        .value_kind:     hidden_global_offset_x
      - .offset:         104
        .size:           8
        .value_kind:     hidden_global_offset_y
      - .offset:         112
        .size:           8
        .value_kind:     hidden_global_offset_z
      - .offset:         120
        .size:           2
        .value_kind:     hidden_grid_dims
    .group_segment_fixed_size: 0
    .kernarg_segment_align: 8
    .kernarg_segment_size: 312
    .language:       OpenCL C
    .language_version:
      - 2
      - 0
    .max_flat_workgroup_size: 8
    .name:           _Z30fast_hadamard_transform_kernelI37fast_hadamard_transform_kernel_traitsILi8ELi6EfEEv18HadamardParamsBase
    .private_segment_fixed_size: 0
    .sgpr_count:     23
    .sgpr_spill_count: 0
    .symbol:         _Z30fast_hadamard_transform_kernelI37fast_hadamard_transform_kernel_traitsILi8ELi6EfEEv18HadamardParamsBase.kd
    .uniform_work_group_size: 1
    .uses_dynamic_stack: false
    .vgpr_count:     26
    .vgpr_spill_count: 0
    .wavefront_size: 64
  - .agpr_count:     0
    .args:
      - .offset:         0
        .size:           56
        .value_kind:     by_value
      - .offset:         56
        .size:           4
        .value_kind:     hidden_block_count_x
      - .offset:         60
        .size:           4
        .value_kind:     hidden_block_count_y
      - .offset:         64
        .size:           4
        .value_kind:     hidden_block_count_z
      - .offset:         68
        .size:           2
        .value_kind:     hidden_group_size_x
      - .offset:         70
        .size:           2
        .value_kind:     hidden_group_size_y
      - .offset:         72
        .size:           2
        .value_kind:     hidden_group_size_z
      - .offset:         74
        .size:           2
        .value_kind:     hidden_remainder_x
      - .offset:         76
        .size:           2
        .value_kind:     hidden_remainder_y
      - .offset:         78
        .size:           2
        .value_kind:     hidden_remainder_z
      - .offset:         96
        .size:           8
        .value_kind:     hidden_global_offset_x
      - .offset:         104
        .size:           8
        .value_kind:     hidden_global_offset_y
      - .offset:         112
        .size:           8
        .value_kind:     hidden_global_offset_z
      - .offset:         120
        .size:           2
        .value_kind:     hidden_grid_dims
    .group_segment_fixed_size: 0
    .kernarg_segment_align: 8
    .kernarg_segment_size: 312
    .language:       OpenCL C
    .language_version:
      - 2
      - 0
    .max_flat_workgroup_size: 16
    .name:           _Z30fast_hadamard_transform_kernelI37fast_hadamard_transform_kernel_traitsILi16ELi7EfEEv18HadamardParamsBase
    .private_segment_fixed_size: 0
    .sgpr_count:     26
    .sgpr_spill_count: 0
    .symbol:         _Z30fast_hadamard_transform_kernelI37fast_hadamard_transform_kernel_traitsILi16ELi7EfEEv18HadamardParamsBase.kd
    .uniform_work_group_size: 1
    .uses_dynamic_stack: false
    .vgpr_count:     28
    .vgpr_spill_count: 0
    .wavefront_size: 64
  - .agpr_count:     0
    .args:
      - .offset:         0
        .size:           56
        .value_kind:     by_value
      - .offset:         56
        .size:           4
        .value_kind:     hidden_block_count_x
      - .offset:         60
        .size:           4
        .value_kind:     hidden_block_count_y
      - .offset:         64
        .size:           4
        .value_kind:     hidden_block_count_z
      - .offset:         68
        .size:           2
        .value_kind:     hidden_group_size_x
      - .offset:         70
        .size:           2
        .value_kind:     hidden_group_size_y
      - .offset:         72
        .size:           2
        .value_kind:     hidden_group_size_z
      - .offset:         74
        .size:           2
        .value_kind:     hidden_remainder_x
      - .offset:         76
        .size:           2
        .value_kind:     hidden_remainder_y
      - .offset:         78
        .size:           2
        .value_kind:     hidden_remainder_z
      - .offset:         96
        .size:           8
        .value_kind:     hidden_global_offset_x
      - .offset:         104
        .size:           8
        .value_kind:     hidden_global_offset_y
      - .offset:         112
        .size:           8
        .value_kind:     hidden_global_offset_z
      - .offset:         120
        .size:           2
        .value_kind:     hidden_grid_dims
    .group_segment_fixed_size: 0
    .kernarg_segment_align: 8
    .kernarg_segment_size: 312
    .language:       OpenCL C
    .language_version:
      - 2
      - 0
    .max_flat_workgroup_size: 32
    .name:           _Z30fast_hadamard_transform_kernelI37fast_hadamard_transform_kernel_traitsILi32ELi8EfEEv18HadamardParamsBase
    .private_segment_fixed_size: 0
    .sgpr_count:     26
    .sgpr_spill_count: 0
    .symbol:         _Z30fast_hadamard_transform_kernelI37fast_hadamard_transform_kernel_traitsILi32ELi8EfEEv18HadamardParamsBase.kd
    .uniform_work_group_size: 1
    .uses_dynamic_stack: false
    .vgpr_count:     29
    .vgpr_spill_count: 0
    .wavefront_size: 64
  - .agpr_count:     0
    .args:
      - .offset:         0
        .size:           56
        .value_kind:     by_value
      - .offset:         56
        .size:           4
        .value_kind:     hidden_block_count_x
      - .offset:         60
        .size:           4
        .value_kind:     hidden_block_count_y
      - .offset:         64
        .size:           4
        .value_kind:     hidden_block_count_z
      - .offset:         68
        .size:           2
        .value_kind:     hidden_group_size_x
      - .offset:         70
        .size:           2
        .value_kind:     hidden_group_size_y
      - .offset:         72
        .size:           2
        .value_kind:     hidden_group_size_z
      - .offset:         74
        .size:           2
        .value_kind:     hidden_remainder_x
      - .offset:         76
        .size:           2
        .value_kind:     hidden_remainder_y
      - .offset:         78
        .size:           2
        .value_kind:     hidden_remainder_z
      - .offset:         96
        .size:           8
        .value_kind:     hidden_global_offset_x
      - .offset:         104
        .size:           8
        .value_kind:     hidden_global_offset_y
      - .offset:         112
        .size:           8
        .value_kind:     hidden_global_offset_z
      - .offset:         120
        .size:           2
        .value_kind:     hidden_grid_dims
    .group_segment_fixed_size: 0
    .kernarg_segment_align: 8
    .kernarg_segment_size: 312
    .language:       OpenCL C
    .language_version:
      - 2
      - 0
    .max_flat_workgroup_size: 32
    .name:           _Z30fast_hadamard_transform_kernelI37fast_hadamard_transform_kernel_traitsILi32ELi9EfEEv18HadamardParamsBase
    .private_segment_fixed_size: 0
    .sgpr_count:     30
    .sgpr_spill_count: 0
    .symbol:         _Z30fast_hadamard_transform_kernelI37fast_hadamard_transform_kernel_traitsILi32ELi9EfEEv18HadamardParamsBase.kd
    .uniform_work_group_size: 1
    .uses_dynamic_stack: false
    .vgpr_count:     46
    .vgpr_spill_count: 0
    .wavefront_size: 64
  - .agpr_count:     0
    .args:
      - .offset:         0
        .size:           56
        .value_kind:     by_value
      - .offset:         56
        .size:           4
        .value_kind:     hidden_block_count_x
      - .offset:         60
        .size:           4
        .value_kind:     hidden_block_count_y
      - .offset:         64
        .size:           4
        .value_kind:     hidden_block_count_z
      - .offset:         68
        .size:           2
        .value_kind:     hidden_group_size_x
      - .offset:         70
        .size:           2
        .value_kind:     hidden_group_size_y
      - .offset:         72
        .size:           2
        .value_kind:     hidden_group_size_z
      - .offset:         74
        .size:           2
        .value_kind:     hidden_remainder_x
      - .offset:         76
        .size:           2
        .value_kind:     hidden_remainder_y
      - .offset:         78
        .size:           2
        .value_kind:     hidden_remainder_z
      - .offset:         96
        .size:           8
        .value_kind:     hidden_global_offset_x
      - .offset:         104
        .size:           8
        .value_kind:     hidden_global_offset_y
      - .offset:         112
        .size:           8
        .value_kind:     hidden_global_offset_z
      - .offset:         120
        .size:           2
        .value_kind:     hidden_grid_dims
      - .offset:         176
        .size:           4
        .value_kind:     hidden_dynamic_lds_size
    .group_segment_fixed_size: 0
    .kernarg_segment_align: 8
    .kernarg_segment_size: 312
    .language:       OpenCL C
    .language_version:
      - 2
      - 0
    .max_flat_workgroup_size: 128
    .name:           _Z30fast_hadamard_transform_kernelI37fast_hadamard_transform_kernel_traitsILi128ELi10EfEEv18HadamardParamsBase
    .private_segment_fixed_size: 0
    .sgpr_count:     30
    .sgpr_spill_count: 0
    .symbol:         _Z30fast_hadamard_transform_kernelI37fast_hadamard_transform_kernel_traitsILi128ELi10EfEEv18HadamardParamsBase.kd
    .uniform_work_group_size: 1
    .uses_dynamic_stack: false
    .vgpr_count:     34
    .vgpr_spill_count: 0
    .wavefront_size: 64
  - .agpr_count:     0
    .args:
      - .offset:         0
        .size:           56
        .value_kind:     by_value
      - .offset:         56
        .size:           4
        .value_kind:     hidden_block_count_x
      - .offset:         60
        .size:           4
        .value_kind:     hidden_block_count_y
      - .offset:         64
        .size:           4
        .value_kind:     hidden_block_count_z
      - .offset:         68
        .size:           2
        .value_kind:     hidden_group_size_x
      - .offset:         70
        .size:           2
        .value_kind:     hidden_group_size_y
      - .offset:         72
        .size:           2
        .value_kind:     hidden_group_size_z
      - .offset:         74
        .size:           2
        .value_kind:     hidden_remainder_x
      - .offset:         76
        .size:           2
        .value_kind:     hidden_remainder_y
      - .offset:         78
        .size:           2
        .value_kind:     hidden_remainder_z
      - .offset:         96
        .size:           8
        .value_kind:     hidden_global_offset_x
      - .offset:         104
        .size:           8
        .value_kind:     hidden_global_offset_y
      - .offset:         112
        .size:           8
        .value_kind:     hidden_global_offset_z
      - .offset:         120
        .size:           2
        .value_kind:     hidden_grid_dims
      - .offset:         176
        .size:           4
        .value_kind:     hidden_dynamic_lds_size
    .group_segment_fixed_size: 0
    .kernarg_segment_align: 8
    .kernarg_segment_size: 312
    .language:       OpenCL C
    .language_version:
      - 2
      - 0
    .max_flat_workgroup_size: 256
    .name:           _Z30fast_hadamard_transform_kernelI37fast_hadamard_transform_kernel_traitsILi256ELi11EfEEv18HadamardParamsBase
    .private_segment_fixed_size: 0
    .sgpr_count:     30
    .sgpr_spill_count: 0
    .symbol:         _Z30fast_hadamard_transform_kernelI37fast_hadamard_transform_kernel_traitsILi256ELi11EfEEv18HadamardParamsBase.kd
    .uniform_work_group_size: 1
    .uses_dynamic_stack: false
    .vgpr_count:     34
    .vgpr_spill_count: 0
    .wavefront_size: 64
  - .agpr_count:     0
    .args:
      - .offset:         0
        .size:           56
        .value_kind:     by_value
      - .offset:         56
        .size:           4
        .value_kind:     hidden_block_count_x
      - .offset:         60
        .size:           4
        .value_kind:     hidden_block_count_y
      - .offset:         64
        .size:           4
        .value_kind:     hidden_block_count_z
      - .offset:         68
        .size:           2
        .value_kind:     hidden_group_size_x
      - .offset:         70
        .size:           2
        .value_kind:     hidden_group_size_y
      - .offset:         72
        .size:           2
        .value_kind:     hidden_group_size_z
      - .offset:         74
        .size:           2
        .value_kind:     hidden_remainder_x
      - .offset:         76
        .size:           2
        .value_kind:     hidden_remainder_y
      - .offset:         78
        .size:           2
        .value_kind:     hidden_remainder_z
      - .offset:         96
        .size:           8
        .value_kind:     hidden_global_offset_x
      - .offset:         104
        .size:           8
        .value_kind:     hidden_global_offset_y
      - .offset:         112
        .size:           8
        .value_kind:     hidden_global_offset_z
      - .offset:         120
        .size:           2
        .value_kind:     hidden_grid_dims
      - .offset:         176
        .size:           4
        .value_kind:     hidden_dynamic_lds_size
    .group_segment_fixed_size: 0
    .kernarg_segment_align: 8
    .kernarg_segment_size: 312
    .language:       OpenCL C
    .language_version:
      - 2
      - 0
    .max_flat_workgroup_size: 256
    .name:           _Z30fast_hadamard_transform_kernelI37fast_hadamard_transform_kernel_traitsILi256ELi12EfEEv18HadamardParamsBase
    .private_segment_fixed_size: 0
    .sgpr_count:     34
    .sgpr_spill_count: 0
    .symbol:         _Z30fast_hadamard_transform_kernelI37fast_hadamard_transform_kernel_traitsILi256ELi12EfEEv18HadamardParamsBase.kd
    .uniform_work_group_size: 1
    .uses_dynamic_stack: false
    .vgpr_count:     52
    .vgpr_spill_count: 0
    .wavefront_size: 64
  - .agpr_count:     0
    .args:
      - .offset:         0
        .size:           56
        .value_kind:     by_value
      - .offset:         56
        .size:           4
        .value_kind:     hidden_block_count_x
      - .offset:         60
        .size:           4
        .value_kind:     hidden_block_count_y
      - .offset:         64
        .size:           4
        .value_kind:     hidden_block_count_z
      - .offset:         68
        .size:           2
        .value_kind:     hidden_group_size_x
      - .offset:         70
        .size:           2
        .value_kind:     hidden_group_size_y
      - .offset:         72
        .size:           2
        .value_kind:     hidden_group_size_z
      - .offset:         74
        .size:           2
        .value_kind:     hidden_remainder_x
      - .offset:         76
        .size:           2
        .value_kind:     hidden_remainder_y
      - .offset:         78
        .size:           2
        .value_kind:     hidden_remainder_z
      - .offset:         96
        .size:           8
        .value_kind:     hidden_global_offset_x
      - .offset:         104
        .size:           8
        .value_kind:     hidden_global_offset_y
      - .offset:         112
        .size:           8
        .value_kind:     hidden_global_offset_z
      - .offset:         120
        .size:           2
        .value_kind:     hidden_grid_dims
      - .offset:         176
        .size:           4
        .value_kind:     hidden_dynamic_lds_size
    .group_segment_fixed_size: 0
    .kernarg_segment_align: 8
    .kernarg_segment_size: 312
    .language:       OpenCL C
    .language_version:
      - 2
      - 0
    .max_flat_workgroup_size: 256
    .name:           _Z30fast_hadamard_transform_kernelI37fast_hadamard_transform_kernel_traitsILi256ELi13EfEEv18HadamardParamsBase
    .private_segment_fixed_size: 0
    .sgpr_count:     46
    .sgpr_spill_count: 0
    .symbol:         _Z30fast_hadamard_transform_kernelI37fast_hadamard_transform_kernel_traitsILi256ELi13EfEEv18HadamardParamsBase.kd
    .uniform_work_group_size: 1
    .uses_dynamic_stack: false
    .vgpr_count:     74
    .vgpr_spill_count: 0
    .wavefront_size: 64
  - .agpr_count:     0
    .args:
      - .offset:         0
        .size:           56
        .value_kind:     by_value
      - .offset:         56
        .size:           4
        .value_kind:     hidden_block_count_x
      - .offset:         60
        .size:           4
        .value_kind:     hidden_block_count_y
      - .offset:         64
        .size:           4
        .value_kind:     hidden_block_count_z
      - .offset:         68
        .size:           2
        .value_kind:     hidden_group_size_x
      - .offset:         70
        .size:           2
        .value_kind:     hidden_group_size_y
      - .offset:         72
        .size:           2
        .value_kind:     hidden_group_size_z
      - .offset:         74
        .size:           2
        .value_kind:     hidden_remainder_x
      - .offset:         76
        .size:           2
        .value_kind:     hidden_remainder_y
      - .offset:         78
        .size:           2
        .value_kind:     hidden_remainder_z
      - .offset:         96
        .size:           8
        .value_kind:     hidden_global_offset_x
      - .offset:         104
        .size:           8
        .value_kind:     hidden_global_offset_y
      - .offset:         112
        .size:           8
        .value_kind:     hidden_global_offset_z
      - .offset:         120
        .size:           2
        .value_kind:     hidden_grid_dims
      - .offset:         176
        .size:           4
        .value_kind:     hidden_dynamic_lds_size
    .group_segment_fixed_size: 0
    .kernarg_segment_align: 8
    .kernarg_segment_size: 312
    .language:       OpenCL C
    .language_version:
      - 2
      - 0
    .max_flat_workgroup_size: 256
    .name:           _Z30fast_hadamard_transform_kernelI37fast_hadamard_transform_kernel_traitsILi256ELi14EfEEv18HadamardParamsBase
    .private_segment_fixed_size: 0
    .sgpr_count:     62
    .sgpr_spill_count: 0
    .symbol:         _Z30fast_hadamard_transform_kernelI37fast_hadamard_transform_kernel_traitsILi256ELi14EfEEv18HadamardParamsBase.kd
    .uniform_work_group_size: 1
    .uses_dynamic_stack: false
    .vgpr_count:     152
    .vgpr_spill_count: 0
    .wavefront_size: 64
  - .agpr_count:     70
    .args:
      - .offset:         0
        .size:           56
        .value_kind:     by_value
      - .offset:         56
        .size:           4
        .value_kind:     hidden_block_count_x
      - .offset:         60
        .size:           4
        .value_kind:     hidden_block_count_y
      - .offset:         64
        .size:           4
        .value_kind:     hidden_block_count_z
      - .offset:         68
        .size:           2
        .value_kind:     hidden_group_size_x
      - .offset:         70
        .size:           2
        .value_kind:     hidden_group_size_y
      - .offset:         72
        .size:           2
        .value_kind:     hidden_group_size_z
      - .offset:         74
        .size:           2
        .value_kind:     hidden_remainder_x
      - .offset:         76
        .size:           2
        .value_kind:     hidden_remainder_y
      - .offset:         78
        .size:           2
        .value_kind:     hidden_remainder_z
      - .offset:         96
        .size:           8
        .value_kind:     hidden_global_offset_x
      - .offset:         104
        .size:           8
        .value_kind:     hidden_global_offset_y
      - .offset:         112
        .size:           8
        .value_kind:     hidden_global_offset_z
      - .offset:         120
        .size:           2
        .value_kind:     hidden_grid_dims
      - .offset:         176
        .size:           4
        .value_kind:     hidden_dynamic_lds_size
    .group_segment_fixed_size: 0
    .kernarg_segment_align: 8
    .kernarg_segment_size: 312
    .language:       OpenCL C
    .language_version:
      - 2
      - 0
    .max_flat_workgroup_size: 256
    .name:           _Z30fast_hadamard_transform_kernelI37fast_hadamard_transform_kernel_traitsILi256ELi15EfEEv18HadamardParamsBase
    .private_segment_fixed_size: 0
    .sgpr_count:     86
    .sgpr_spill_count: 0
    .symbol:         _Z30fast_hadamard_transform_kernelI37fast_hadamard_transform_kernel_traitsILi256ELi15EfEEv18HadamardParamsBase.kd
    .uniform_work_group_size: 1
    .uses_dynamic_stack: false
    .vgpr_count:     326
    .vgpr_spill_count: 0
    .wavefront_size: 64
  - .agpr_count:     0
    .args:
      - .offset:         0
        .size:           56
        .value_kind:     by_value
    .group_segment_fixed_size: 0
    .kernarg_segment_align: 8
    .kernarg_segment_size: 56
    .language:       OpenCL C
    .language_version:
      - 2
      - 0
    .max_flat_workgroup_size: 1
    .name:           _Z30fast_hadamard_transform_kernelI37fast_hadamard_transform_kernel_traitsILi1ELi3E6__halfEEv18HadamardParamsBase
    .private_segment_fixed_size: 0
    .sgpr_count:     20
    .sgpr_spill_count: 0
    .symbol:         _Z30fast_hadamard_transform_kernelI37fast_hadamard_transform_kernel_traitsILi1ELi3E6__halfEEv18HadamardParamsBase.kd
    .uniform_work_group_size: 1
    .uses_dynamic_stack: false
    .vgpr_count:     14
    .vgpr_spill_count: 0
    .wavefront_size: 64
  - .agpr_count:     0
    .args:
      - .offset:         0
        .size:           56
        .value_kind:     by_value
    .group_segment_fixed_size: 0
    .kernarg_segment_align: 8
    .kernarg_segment_size: 56
    .language:       OpenCL C
    .language_version:
      - 2
      - 0
    .max_flat_workgroup_size: 2
    .name:           _Z30fast_hadamard_transform_kernelI37fast_hadamard_transform_kernel_traitsILi2ELi4E6__halfEEv18HadamardParamsBase
    .private_segment_fixed_size: 0
    .sgpr_count:     18
    .sgpr_spill_count: 0
    .symbol:         _Z30fast_hadamard_transform_kernelI37fast_hadamard_transform_kernel_traitsILi2ELi4E6__halfEEv18HadamardParamsBase.kd
    .uniform_work_group_size: 1
    .uses_dynamic_stack: false
    .vgpr_count:     18
    .vgpr_spill_count: 0
    .wavefront_size: 64
  - .agpr_count:     0
    .args:
      - .offset:         0
        .size:           56
        .value_kind:     by_value
    .group_segment_fixed_size: 0
    .kernarg_segment_align: 8
    .kernarg_segment_size: 56
    .language:       OpenCL C
    .language_version:
      - 2
      - 0
    .max_flat_workgroup_size: 4
    .name:           _Z30fast_hadamard_transform_kernelI37fast_hadamard_transform_kernel_traitsILi4ELi5E6__halfEEv18HadamardParamsBase
    .private_segment_fixed_size: 0
    .sgpr_count:     18
    .sgpr_spill_count: 0
    .symbol:         _Z30fast_hadamard_transform_kernelI37fast_hadamard_transform_kernel_traitsILi4ELi5E6__halfEEv18HadamardParamsBase.kd
    .uniform_work_group_size: 1
    .uses_dynamic_stack: false
    .vgpr_count:     20
    .vgpr_spill_count: 0
    .wavefront_size: 64
  - .agpr_count:     0
    .args:
      - .offset:         0
        .size:           56
        .value_kind:     by_value
    .group_segment_fixed_size: 0
    .kernarg_segment_align: 8
    .kernarg_segment_size: 56
    .language:       OpenCL C
    .language_version:
      - 2
      - 0
    .max_flat_workgroup_size: 8
    .name:           _Z30fast_hadamard_transform_kernelI37fast_hadamard_transform_kernel_traitsILi8ELi6E6__halfEEv18HadamardParamsBase
    .private_segment_fixed_size: 0
    .sgpr_count:     18
    .sgpr_spill_count: 0
    .symbol:         _Z30fast_hadamard_transform_kernelI37fast_hadamard_transform_kernel_traitsILi8ELi6E6__halfEEv18HadamardParamsBase.kd
    .uniform_work_group_size: 1
    .uses_dynamic_stack: false
    .vgpr_count:     22
    .vgpr_spill_count: 0
    .wavefront_size: 64
  - .agpr_count:     0
    .args:
      - .offset:         0
        .size:           56
        .value_kind:     by_value
    .group_segment_fixed_size: 0
    .kernarg_segment_align: 8
    .kernarg_segment_size: 56
    .language:       OpenCL C
    .language_version:
      - 2
      - 0
    .max_flat_workgroup_size: 16
    .name:           _Z30fast_hadamard_transform_kernelI37fast_hadamard_transform_kernel_traitsILi16ELi7E6__halfEEv18HadamardParamsBase
    .private_segment_fixed_size: 0
    .sgpr_count:     18
    .sgpr_spill_count: 0
    .symbol:         _Z30fast_hadamard_transform_kernelI37fast_hadamard_transform_kernel_traitsILi16ELi7E6__halfEEv18HadamardParamsBase.kd
    .uniform_work_group_size: 1
    .uses_dynamic_stack: false
    .vgpr_count:     26
    .vgpr_spill_count: 0
    .wavefront_size: 64
  - .agpr_count:     0
    .args:
      - .offset:         0
        .size:           56
        .value_kind:     by_value
    .group_segment_fixed_size: 0
    .kernarg_segment_align: 8
    .kernarg_segment_size: 56
    .language:       OpenCL C
    .language_version:
      - 2
      - 0
    .max_flat_workgroup_size: 32
    .name:           _Z30fast_hadamard_transform_kernelI37fast_hadamard_transform_kernel_traitsILi32ELi8E6__halfEEv18HadamardParamsBase
    .private_segment_fixed_size: 0
    .sgpr_count:     18
    .sgpr_spill_count: 0
    .symbol:         _Z30fast_hadamard_transform_kernelI37fast_hadamard_transform_kernel_traitsILi32ELi8E6__halfEEv18HadamardParamsBase.kd
    .uniform_work_group_size: 1
    .uses_dynamic_stack: false
    .vgpr_count:     26
    .vgpr_spill_count: 0
    .wavefront_size: 64
  - .agpr_count:     0
    .args:
      - .offset:         0
        .size:           56
        .value_kind:     by_value
      - .offset:         56
        .size:           4
        .value_kind:     hidden_block_count_x
      - .offset:         60
        .size:           4
        .value_kind:     hidden_block_count_y
      - .offset:         64
        .size:           4
        .value_kind:     hidden_block_count_z
      - .offset:         68
        .size:           2
        .value_kind:     hidden_group_size_x
      - .offset:         70
        .size:           2
        .value_kind:     hidden_group_size_y
      - .offset:         72
        .size:           2
        .value_kind:     hidden_group_size_z
      - .offset:         74
        .size:           2
        .value_kind:     hidden_remainder_x
      - .offset:         76
        .size:           2
        .value_kind:     hidden_remainder_y
      - .offset:         78
        .size:           2
        .value_kind:     hidden_remainder_z
      - .offset:         96
        .size:           8
        .value_kind:     hidden_global_offset_x
      - .offset:         104
        .size:           8
        .value_kind:     hidden_global_offset_y
      - .offset:         112
        .size:           8
        .value_kind:     hidden_global_offset_z
      - .offset:         120
        .size:           2
        .value_kind:     hidden_grid_dims
    .group_segment_fixed_size: 0
    .kernarg_segment_align: 8
    .kernarg_segment_size: 312
    .language:       OpenCL C
    .language_version:
      - 2
      - 0
    .max_flat_workgroup_size: 32
    .name:           _Z30fast_hadamard_transform_kernelI37fast_hadamard_transform_kernel_traitsILi32ELi9E6__halfEEv18HadamardParamsBase
    .private_segment_fixed_size: 0
    .sgpr_count:     21
    .sgpr_spill_count: 0
    .symbol:         _Z30fast_hadamard_transform_kernelI37fast_hadamard_transform_kernel_traitsILi32ELi9E6__halfEEv18HadamardParamsBase.kd
    .uniform_work_group_size: 1
    .uses_dynamic_stack: false
    .vgpr_count:     46
    .vgpr_spill_count: 0
    .wavefront_size: 64
  - .agpr_count:     0
    .args:
      - .offset:         0
        .size:           56
        .value_kind:     by_value
    .group_segment_fixed_size: 0
    .kernarg_segment_align: 8
    .kernarg_segment_size: 56
    .language:       OpenCL C
    .language_version:
      - 2
      - 0
    .max_flat_workgroup_size: 128
    .name:           _Z30fast_hadamard_transform_kernelI37fast_hadamard_transform_kernel_traitsILi128ELi10E6__halfEEv18HadamardParamsBase
    .private_segment_fixed_size: 0
    .sgpr_count:     22
    .sgpr_spill_count: 0
    .symbol:         _Z30fast_hadamard_transform_kernelI37fast_hadamard_transform_kernel_traitsILi128ELi10E6__halfEEv18HadamardParamsBase.kd
    .uniform_work_group_size: 1
    .uses_dynamic_stack: false
    .vgpr_count:     32
    .vgpr_spill_count: 0
    .wavefront_size: 64
  - .agpr_count:     0
    .args:
      - .offset:         0
        .size:           56
        .value_kind:     by_value
    .group_segment_fixed_size: 0
    .kernarg_segment_align: 8
    .kernarg_segment_size: 56
    .language:       OpenCL C
    .language_version:
      - 2
      - 0
    .max_flat_workgroup_size: 256
    .name:           _Z30fast_hadamard_transform_kernelI37fast_hadamard_transform_kernel_traitsILi256ELi11E6__halfEEv18HadamardParamsBase
    .private_segment_fixed_size: 0
    .sgpr_count:     22
    .sgpr_spill_count: 0
    .symbol:         _Z30fast_hadamard_transform_kernelI37fast_hadamard_transform_kernel_traitsILi256ELi11E6__halfEEv18HadamardParamsBase.kd
    .uniform_work_group_size: 1
    .uses_dynamic_stack: false
    .vgpr_count:     32
    .vgpr_spill_count: 0
    .wavefront_size: 64
  - .agpr_count:     0
    .args:
      - .offset:         0
        .size:           56
        .value_kind:     by_value
      - .offset:         56
        .size:           4
        .value_kind:     hidden_block_count_x
      - .offset:         60
        .size:           4
        .value_kind:     hidden_block_count_y
      - .offset:         64
        .size:           4
        .value_kind:     hidden_block_count_z
      - .offset:         68
        .size:           2
        .value_kind:     hidden_group_size_x
      - .offset:         70
        .size:           2
        .value_kind:     hidden_group_size_y
      - .offset:         72
        .size:           2
        .value_kind:     hidden_group_size_z
      - .offset:         74
        .size:           2
        .value_kind:     hidden_remainder_x
      - .offset:         76
        .size:           2
        .value_kind:     hidden_remainder_y
      - .offset:         78
        .size:           2
        .value_kind:     hidden_remainder_z
      - .offset:         96
        .size:           8
        .value_kind:     hidden_global_offset_x
      - .offset:         104
        .size:           8
        .value_kind:     hidden_global_offset_y
      - .offset:         112
        .size:           8
        .value_kind:     hidden_global_offset_z
      - .offset:         120
        .size:           2
        .value_kind:     hidden_grid_dims
      - .offset:         176
        .size:           4
        .value_kind:     hidden_dynamic_lds_size
    .group_segment_fixed_size: 0
    .kernarg_segment_align: 8
    .kernarg_segment_size: 312
    .language:       OpenCL C
    .language_version:
      - 2
      - 0
    .max_flat_workgroup_size: 256
    .name:           _Z30fast_hadamard_transform_kernelI37fast_hadamard_transform_kernel_traitsILi256ELi12E6__halfEEv18HadamardParamsBase
    .private_segment_fixed_size: 0
    .sgpr_count:     30
    .sgpr_spill_count: 0
    .symbol:         _Z30fast_hadamard_transform_kernelI37fast_hadamard_transform_kernel_traitsILi256ELi12E6__halfEEv18HadamardParamsBase.kd
    .uniform_work_group_size: 1
    .uses_dynamic_stack: false
    .vgpr_count:     49
    .vgpr_spill_count: 0
    .wavefront_size: 64
  - .agpr_count:     0
    .args:
      - .offset:         0
        .size:           56
        .value_kind:     by_value
      - .offset:         56
        .size:           4
        .value_kind:     hidden_block_count_x
      - .offset:         60
        .size:           4
        .value_kind:     hidden_block_count_y
      - .offset:         64
        .size:           4
        .value_kind:     hidden_block_count_z
      - .offset:         68
        .size:           2
        .value_kind:     hidden_group_size_x
      - .offset:         70
        .size:           2
        .value_kind:     hidden_group_size_y
      - .offset:         72
        .size:           2
        .value_kind:     hidden_group_size_z
      - .offset:         74
        .size:           2
        .value_kind:     hidden_remainder_x
      - .offset:         76
        .size:           2
        .value_kind:     hidden_remainder_y
      - .offset:         78
        .size:           2
        .value_kind:     hidden_remainder_z
      - .offset:         96
        .size:           8
        .value_kind:     hidden_global_offset_x
      - .offset:         104
        .size:           8
        .value_kind:     hidden_global_offset_y
      - .offset:         112
        .size:           8
        .value_kind:     hidden_global_offset_z
      - .offset:         120
        .size:           2
        .value_kind:     hidden_grid_dims
      - .offset:         176
        .size:           4
        .value_kind:     hidden_dynamic_lds_size
    .group_segment_fixed_size: 0
    .kernarg_segment_align: 8
    .kernarg_segment_size: 312
    .language:       OpenCL C
    .language_version:
      - 2
      - 0
    .max_flat_workgroup_size: 256
    .name:           _Z30fast_hadamard_transform_kernelI37fast_hadamard_transform_kernel_traitsILi256ELi13E6__halfEEv18HadamardParamsBase
    .private_segment_fixed_size: 0
    .sgpr_count:     34
    .sgpr_spill_count: 0
    .symbol:         _Z30fast_hadamard_transform_kernelI37fast_hadamard_transform_kernel_traitsILi256ELi13E6__halfEEv18HadamardParamsBase.kd
    .uniform_work_group_size: 1
    .uses_dynamic_stack: false
    .vgpr_count:     73
    .vgpr_spill_count: 0
    .wavefront_size: 64
  - .agpr_count:     0
    .args:
      - .offset:         0
        .size:           56
        .value_kind:     by_value
      - .offset:         56
        .size:           4
        .value_kind:     hidden_block_count_x
      - .offset:         60
        .size:           4
        .value_kind:     hidden_block_count_y
      - .offset:         64
        .size:           4
        .value_kind:     hidden_block_count_z
      - .offset:         68
        .size:           2
        .value_kind:     hidden_group_size_x
      - .offset:         70
        .size:           2
        .value_kind:     hidden_group_size_y
      - .offset:         72
        .size:           2
        .value_kind:     hidden_group_size_z
      - .offset:         74
        .size:           2
        .value_kind:     hidden_remainder_x
      - .offset:         76
        .size:           2
        .value_kind:     hidden_remainder_y
      - .offset:         78
        .size:           2
        .value_kind:     hidden_remainder_z
      - .offset:         96
        .size:           8
        .value_kind:     hidden_global_offset_x
      - .offset:         104
        .size:           8
        .value_kind:     hidden_global_offset_y
      - .offset:         112
        .size:           8
        .value_kind:     hidden_global_offset_z
      - .offset:         120
        .size:           2
        .value_kind:     hidden_grid_dims
      - .offset:         176
        .size:           4
        .value_kind:     hidden_dynamic_lds_size
    .group_segment_fixed_size: 0
    .kernarg_segment_align: 8
    .kernarg_segment_size: 312
    .language:       OpenCL C
    .language_version:
      - 2
      - 0
    .max_flat_workgroup_size: 256
    .name:           _Z30fast_hadamard_transform_kernelI37fast_hadamard_transform_kernel_traitsILi256ELi14E6__halfEEv18HadamardParamsBase
    .private_segment_fixed_size: 0
    .sgpr_count:     46
    .sgpr_spill_count: 0
    .symbol:         _Z30fast_hadamard_transform_kernelI37fast_hadamard_transform_kernel_traitsILi256ELi14E6__halfEEv18HadamardParamsBase.kd
    .uniform_work_group_size: 1
    .uses_dynamic_stack: false
    .vgpr_count:     127
    .vgpr_spill_count: 0
    .wavefront_size: 64
  - .agpr_count:     32
    .args:
      - .offset:         0
        .size:           56
        .value_kind:     by_value
      - .offset:         56
        .size:           4
        .value_kind:     hidden_block_count_x
      - .offset:         60
        .size:           4
        .value_kind:     hidden_block_count_y
      - .offset:         64
        .size:           4
        .value_kind:     hidden_block_count_z
      - .offset:         68
        .size:           2
        .value_kind:     hidden_group_size_x
      - .offset:         70
        .size:           2
        .value_kind:     hidden_group_size_y
      - .offset:         72
        .size:           2
        .value_kind:     hidden_group_size_z
      - .offset:         74
        .size:           2
        .value_kind:     hidden_remainder_x
      - .offset:         76
        .size:           2
        .value_kind:     hidden_remainder_y
      - .offset:         78
        .size:           2
        .value_kind:     hidden_remainder_z
      - .offset:         96
        .size:           8
        .value_kind:     hidden_global_offset_x
      - .offset:         104
        .size:           8
        .value_kind:     hidden_global_offset_y
      - .offset:         112
        .size:           8
        .value_kind:     hidden_global_offset_z
      - .offset:         120
        .size:           2
        .value_kind:     hidden_grid_dims
      - .offset:         176
        .size:           4
        .value_kind:     hidden_dynamic_lds_size
    .group_segment_fixed_size: 0
    .kernarg_segment_align: 8
    .kernarg_segment_size: 312
    .language:       OpenCL C
    .language_version:
      - 2
      - 0
    .max_flat_workgroup_size: 256
    .name:           _Z30fast_hadamard_transform_kernelI37fast_hadamard_transform_kernel_traitsILi256ELi15E6__halfEEv18HadamardParamsBase
    .private_segment_fixed_size: 0
    .sgpr_count:     62
    .sgpr_spill_count: 0
    .symbol:         _Z30fast_hadamard_transform_kernelI37fast_hadamard_transform_kernel_traitsILi256ELi15E6__halfEEv18HadamardParamsBase.kd
    .uniform_work_group_size: 1
    .uses_dynamic_stack: false
    .vgpr_count:     288
    .vgpr_spill_count: 0
    .wavefront_size: 64
  - .agpr_count:     0
    .args:
      - .offset:         0
        .size:           56
        .value_kind:     by_value
    .group_segment_fixed_size: 0
    .kernarg_segment_align: 8
    .kernarg_segment_size: 56
    .language:       OpenCL C
    .language_version:
      - 2
      - 0
    .max_flat_workgroup_size: 1
    .name:           _Z30fast_hadamard_transform_kernelI37fast_hadamard_transform_kernel_traitsILi1ELi3E14__hip_bfloat16EEv18HadamardParamsBase
    .private_segment_fixed_size: 0
    .sgpr_count:     20
    .sgpr_spill_count: 0
    .symbol:         _Z30fast_hadamard_transform_kernelI37fast_hadamard_transform_kernel_traitsILi1ELi3E14__hip_bfloat16EEv18HadamardParamsBase.kd
    .uniform_work_group_size: 1
    .uses_dynamic_stack: false
    .vgpr_count:     14
    .vgpr_spill_count: 0
    .wavefront_size: 64
  - .agpr_count:     0
    .args:
      - .offset:         0
        .size:           56
        .value_kind:     by_value
    .group_segment_fixed_size: 0
    .kernarg_segment_align: 8
    .kernarg_segment_size: 56
    .language:       OpenCL C
    .language_version:
      - 2
      - 0
    .max_flat_workgroup_size: 2
    .name:           _Z30fast_hadamard_transform_kernelI37fast_hadamard_transform_kernel_traitsILi2ELi4E14__hip_bfloat16EEv18HadamardParamsBase
    .private_segment_fixed_size: 0
    .sgpr_count:     18
    .sgpr_spill_count: 0
    .symbol:         _Z30fast_hadamard_transform_kernelI37fast_hadamard_transform_kernel_traitsILi2ELi4E14__hip_bfloat16EEv18HadamardParamsBase.kd
    .uniform_work_group_size: 1
    .uses_dynamic_stack: false
    .vgpr_count:     18
    .vgpr_spill_count: 0
    .wavefront_size: 64
  - .agpr_count:     0
    .args:
      - .offset:         0
        .size:           56
        .value_kind:     by_value
    .group_segment_fixed_size: 0
    .kernarg_segment_align: 8
    .kernarg_segment_size: 56
    .language:       OpenCL C
    .language_version:
      - 2
      - 0
    .max_flat_workgroup_size: 4
    .name:           _Z30fast_hadamard_transform_kernelI37fast_hadamard_transform_kernel_traitsILi4ELi5E14__hip_bfloat16EEv18HadamardParamsBase
    .private_segment_fixed_size: 0
    .sgpr_count:     18
    .sgpr_spill_count: 0
    .symbol:         _Z30fast_hadamard_transform_kernelI37fast_hadamard_transform_kernel_traitsILi4ELi5E14__hip_bfloat16EEv18HadamardParamsBase.kd
    .uniform_work_group_size: 1
    .uses_dynamic_stack: false
    .vgpr_count:     20
    .vgpr_spill_count: 0
    .wavefront_size: 64
  - .agpr_count:     0
    .args:
      - .offset:         0
        .size:           56
        .value_kind:     by_value
    .group_segment_fixed_size: 0
    .kernarg_segment_align: 8
    .kernarg_segment_size: 56
    .language:       OpenCL C
    .language_version:
      - 2
      - 0
    .max_flat_workgroup_size: 8
    .name:           _Z30fast_hadamard_transform_kernelI37fast_hadamard_transform_kernel_traitsILi8ELi6E14__hip_bfloat16EEv18HadamardParamsBase
    .private_segment_fixed_size: 0
    .sgpr_count:     18
    .sgpr_spill_count: 0
    .symbol:         _Z30fast_hadamard_transform_kernelI37fast_hadamard_transform_kernel_traitsILi8ELi6E14__hip_bfloat16EEv18HadamardParamsBase.kd
    .uniform_work_group_size: 1
    .uses_dynamic_stack: false
    .vgpr_count:     22
    .vgpr_spill_count: 0
    .wavefront_size: 64
  - .agpr_count:     0
    .args:
      - .offset:         0
        .size:           56
        .value_kind:     by_value
    .group_segment_fixed_size: 0
    .kernarg_segment_align: 8
    .kernarg_segment_size: 56
    .language:       OpenCL C
    .language_version:
      - 2
      - 0
    .max_flat_workgroup_size: 16
    .name:           _Z30fast_hadamard_transform_kernelI37fast_hadamard_transform_kernel_traitsILi16ELi7E14__hip_bfloat16EEv18HadamardParamsBase
    .private_segment_fixed_size: 0
    .sgpr_count:     18
    .sgpr_spill_count: 0
    .symbol:         _Z30fast_hadamard_transform_kernelI37fast_hadamard_transform_kernel_traitsILi16ELi7E14__hip_bfloat16EEv18HadamardParamsBase.kd
    .uniform_work_group_size: 1
    .uses_dynamic_stack: false
    .vgpr_count:     26
    .vgpr_spill_count: 0
    .wavefront_size: 64
  - .agpr_count:     0
    .args:
      - .offset:         0
        .size:           56
        .value_kind:     by_value
    .group_segment_fixed_size: 0
    .kernarg_segment_align: 8
    .kernarg_segment_size: 56
    .language:       OpenCL C
    .language_version:
      - 2
      - 0
    .max_flat_workgroup_size: 32
    .name:           _Z30fast_hadamard_transform_kernelI37fast_hadamard_transform_kernel_traitsILi32ELi8E14__hip_bfloat16EEv18HadamardParamsBase
    .private_segment_fixed_size: 0
    .sgpr_count:     18
    .sgpr_spill_count: 0
    .symbol:         _Z30fast_hadamard_transform_kernelI37fast_hadamard_transform_kernel_traitsILi32ELi8E14__hip_bfloat16EEv18HadamardParamsBase.kd
    .uniform_work_group_size: 1
    .uses_dynamic_stack: false
    .vgpr_count:     26
    .vgpr_spill_count: 0
    .wavefront_size: 64
  - .agpr_count:     0
    .args:
      - .offset:         0
        .size:           56
        .value_kind:     by_value
      - .offset:         56
        .size:           4
        .value_kind:     hidden_block_count_x
      - .offset:         60
        .size:           4
        .value_kind:     hidden_block_count_y
      - .offset:         64
        .size:           4
        .value_kind:     hidden_block_count_z
      - .offset:         68
        .size:           2
        .value_kind:     hidden_group_size_x
      - .offset:         70
        .size:           2
        .value_kind:     hidden_group_size_y
      - .offset:         72
        .size:           2
        .value_kind:     hidden_group_size_z
      - .offset:         74
        .size:           2
        .value_kind:     hidden_remainder_x
      - .offset:         76
        .size:           2
        .value_kind:     hidden_remainder_y
      - .offset:         78
        .size:           2
        .value_kind:     hidden_remainder_z
      - .offset:         96
        .size:           8
        .value_kind:     hidden_global_offset_x
      - .offset:         104
        .size:           8
        .value_kind:     hidden_global_offset_y
      - .offset:         112
        .size:           8
        .value_kind:     hidden_global_offset_z
      - .offset:         120
        .size:           2
        .value_kind:     hidden_grid_dims
    .group_segment_fixed_size: 0
    .kernarg_segment_align: 8
    .kernarg_segment_size: 312
    .language:       OpenCL C
    .language_version:
      - 2
      - 0
    .max_flat_workgroup_size: 32
    .name:           _Z30fast_hadamard_transform_kernelI37fast_hadamard_transform_kernel_traitsILi32ELi9E14__hip_bfloat16EEv18HadamardParamsBase
    .private_segment_fixed_size: 0
    .sgpr_count:     21
    .sgpr_spill_count: 0
    .symbol:         _Z30fast_hadamard_transform_kernelI37fast_hadamard_transform_kernel_traitsILi32ELi9E14__hip_bfloat16EEv18HadamardParamsBase.kd
    .uniform_work_group_size: 1
    .uses_dynamic_stack: false
    .vgpr_count:     46
    .vgpr_spill_count: 0
    .wavefront_size: 64
  - .agpr_count:     0
    .args:
      - .offset:         0
        .size:           56
        .value_kind:     by_value
    .group_segment_fixed_size: 0
    .kernarg_segment_align: 8
    .kernarg_segment_size: 56
    .language:       OpenCL C
    .language_version:
      - 2
      - 0
    .max_flat_workgroup_size: 128
    .name:           _Z30fast_hadamard_transform_kernelI37fast_hadamard_transform_kernel_traitsILi128ELi10E14__hip_bfloat16EEv18HadamardParamsBase
    .private_segment_fixed_size: 0
    .sgpr_count:     22
    .sgpr_spill_count: 0
    .symbol:         _Z30fast_hadamard_transform_kernelI37fast_hadamard_transform_kernel_traitsILi128ELi10E14__hip_bfloat16EEv18HadamardParamsBase.kd
    .uniform_work_group_size: 1
    .uses_dynamic_stack: false
    .vgpr_count:     32
    .vgpr_spill_count: 0
    .wavefront_size: 64
  - .agpr_count:     0
    .args:
      - .offset:         0
        .size:           56
        .value_kind:     by_value
    .group_segment_fixed_size: 0
    .kernarg_segment_align: 8
    .kernarg_segment_size: 56
    .language:       OpenCL C
    .language_version:
      - 2
      - 0
    .max_flat_workgroup_size: 256
    .name:           _Z30fast_hadamard_transform_kernelI37fast_hadamard_transform_kernel_traitsILi256ELi11E14__hip_bfloat16EEv18HadamardParamsBase
    .private_segment_fixed_size: 0
    .sgpr_count:     22
    .sgpr_spill_count: 0
    .symbol:         _Z30fast_hadamard_transform_kernelI37fast_hadamard_transform_kernel_traitsILi256ELi11E14__hip_bfloat16EEv18HadamardParamsBase.kd
    .uniform_work_group_size: 1
    .uses_dynamic_stack: false
    .vgpr_count:     32
    .vgpr_spill_count: 0
    .wavefront_size: 64
  - .agpr_count:     0
    .args:
      - .offset:         0
        .size:           56
        .value_kind:     by_value
      - .offset:         56
        .size:           4
        .value_kind:     hidden_block_count_x
      - .offset:         60
        .size:           4
        .value_kind:     hidden_block_count_y
      - .offset:         64
        .size:           4
        .value_kind:     hidden_block_count_z
      - .offset:         68
        .size:           2
        .value_kind:     hidden_group_size_x
      - .offset:         70
        .size:           2
        .value_kind:     hidden_group_size_y
      - .offset:         72
        .size:           2
        .value_kind:     hidden_group_size_z
      - .offset:         74
        .size:           2
        .value_kind:     hidden_remainder_x
      - .offset:         76
        .size:           2
        .value_kind:     hidden_remainder_y
      - .offset:         78
        .size:           2
        .value_kind:     hidden_remainder_z
      - .offset:         96
        .size:           8
        .value_kind:     hidden_global_offset_x
      - .offset:         104
        .size:           8
        .value_kind:     hidden_global_offset_y
      - .offset:         112
        .size:           8
        .value_kind:     hidden_global_offset_z
      - .offset:         120
        .size:           2
        .value_kind:     hidden_grid_dims
      - .offset:         176
        .size:           4
        .value_kind:     hidden_dynamic_lds_size
    .group_segment_fixed_size: 0
    .kernarg_segment_align: 8
    .kernarg_segment_size: 312
    .language:       OpenCL C
    .language_version:
      - 2
      - 0
    .max_flat_workgroup_size: 256
    .name:           _Z30fast_hadamard_transform_kernelI37fast_hadamard_transform_kernel_traitsILi256ELi12E14__hip_bfloat16EEv18HadamardParamsBase
    .private_segment_fixed_size: 0
    .sgpr_count:     30
    .sgpr_spill_count: 0
    .symbol:         _Z30fast_hadamard_transform_kernelI37fast_hadamard_transform_kernel_traitsILi256ELi12E14__hip_bfloat16EEv18HadamardParamsBase.kd
    .uniform_work_group_size: 1
    .uses_dynamic_stack: false
    .vgpr_count:     49
    .vgpr_spill_count: 0
    .wavefront_size: 64
  - .agpr_count:     0
    .args:
      - .offset:         0
        .size:           56
        .value_kind:     by_value
      - .offset:         56
        .size:           4
        .value_kind:     hidden_block_count_x
      - .offset:         60
        .size:           4
        .value_kind:     hidden_block_count_y
      - .offset:         64
        .size:           4
        .value_kind:     hidden_block_count_z
      - .offset:         68
        .size:           2
        .value_kind:     hidden_group_size_x
      - .offset:         70
        .size:           2
        .value_kind:     hidden_group_size_y
      - .offset:         72
        .size:           2
        .value_kind:     hidden_group_size_z
      - .offset:         74
        .size:           2
        .value_kind:     hidden_remainder_x
      - .offset:         76
        .size:           2
        .value_kind:     hidden_remainder_y
      - .offset:         78
        .size:           2
        .value_kind:     hidden_remainder_z
      - .offset:         96
        .size:           8
        .value_kind:     hidden_global_offset_x
      - .offset:         104
        .size:           8
        .value_kind:     hidden_global_offset_y
      - .offset:         112
        .size:           8
        .value_kind:     hidden_global_offset_z
      - .offset:         120
        .size:           2
        .value_kind:     hidden_grid_dims
      - .offset:         176
        .size:           4
        .value_kind:     hidden_dynamic_lds_size
    .group_segment_fixed_size: 0
    .kernarg_segment_align: 8
    .kernarg_segment_size: 312
    .language:       OpenCL C
    .language_version:
      - 2
      - 0
    .max_flat_workgroup_size: 256
    .name:           _Z30fast_hadamard_transform_kernelI37fast_hadamard_transform_kernel_traitsILi256ELi13E14__hip_bfloat16EEv18HadamardParamsBase
    .private_segment_fixed_size: 0
    .sgpr_count:     34
    .sgpr_spill_count: 0
    .symbol:         _Z30fast_hadamard_transform_kernelI37fast_hadamard_transform_kernel_traitsILi256ELi13E14__hip_bfloat16EEv18HadamardParamsBase.kd
    .uniform_work_group_size: 1
    .uses_dynamic_stack: false
    .vgpr_count:     73
    .vgpr_spill_count: 0
    .wavefront_size: 64
  - .agpr_count:     0
    .args:
      - .offset:         0
        .size:           56
        .value_kind:     by_value
      - .offset:         56
        .size:           4
        .value_kind:     hidden_block_count_x
      - .offset:         60
        .size:           4
        .value_kind:     hidden_block_count_y
      - .offset:         64
        .size:           4
        .value_kind:     hidden_block_count_z
      - .offset:         68
        .size:           2
        .value_kind:     hidden_group_size_x
      - .offset:         70
        .size:           2
        .value_kind:     hidden_group_size_y
      - .offset:         72
        .size:           2
        .value_kind:     hidden_group_size_z
      - .offset:         74
        .size:           2
        .value_kind:     hidden_remainder_x
      - .offset:         76
        .size:           2
        .value_kind:     hidden_remainder_y
      - .offset:         78
        .size:           2
        .value_kind:     hidden_remainder_z
      - .offset:         96
        .size:           8
        .value_kind:     hidden_global_offset_x
      - .offset:         104
        .size:           8
        .value_kind:     hidden_global_offset_y
      - .offset:         112
        .size:           8
        .value_kind:     hidden_global_offset_z
      - .offset:         120
        .size:           2
        .value_kind:     hidden_grid_dims
      - .offset:         176
        .size:           4
        .value_kind:     hidden_dynamic_lds_size
    .group_segment_fixed_size: 0
    .kernarg_segment_align: 8
    .kernarg_segment_size: 312
    .language:       OpenCL C
    .language_version:
      - 2
      - 0
    .max_flat_workgroup_size: 256
    .name:           _Z30fast_hadamard_transform_kernelI37fast_hadamard_transform_kernel_traitsILi256ELi14E14__hip_bfloat16EEv18HadamardParamsBase
    .private_segment_fixed_size: 0
    .sgpr_count:     46
    .sgpr_spill_count: 0
    .symbol:         _Z30fast_hadamard_transform_kernelI37fast_hadamard_transform_kernel_traitsILi256ELi14E14__hip_bfloat16EEv18HadamardParamsBase.kd
    .uniform_work_group_size: 1
    .uses_dynamic_stack: false
    .vgpr_count:     132
    .vgpr_spill_count: 0
    .wavefront_size: 64
  - .agpr_count:     32
    .args:
      - .offset:         0
        .size:           56
        .value_kind:     by_value
      - .offset:         56
        .size:           4
        .value_kind:     hidden_block_count_x
      - .offset:         60
        .size:           4
        .value_kind:     hidden_block_count_y
      - .offset:         64
        .size:           4
        .value_kind:     hidden_block_count_z
      - .offset:         68
        .size:           2
        .value_kind:     hidden_group_size_x
      - .offset:         70
        .size:           2
        .value_kind:     hidden_group_size_y
      - .offset:         72
        .size:           2
        .value_kind:     hidden_group_size_z
      - .offset:         74
        .size:           2
        .value_kind:     hidden_remainder_x
      - .offset:         76
        .size:           2
        .value_kind:     hidden_remainder_y
      - .offset:         78
        .size:           2
        .value_kind:     hidden_remainder_z
      - .offset:         96
        .size:           8
        .value_kind:     hidden_global_offset_x
      - .offset:         104
        .size:           8
        .value_kind:     hidden_global_offset_y
      - .offset:         112
        .size:           8
        .value_kind:     hidden_global_offset_z
      - .offset:         120
        .size:           2
        .value_kind:     hidden_grid_dims
      - .offset:         176
        .size:           4
        .value_kind:     hidden_dynamic_lds_size
    .group_segment_fixed_size: 0
    .kernarg_segment_align: 8
    .kernarg_segment_size: 312
    .language:       OpenCL C
    .language_version:
      - 2
      - 0
    .max_flat_workgroup_size: 256
    .name:           _Z30fast_hadamard_transform_kernelI37fast_hadamard_transform_kernel_traitsILi256ELi15E14__hip_bfloat16EEv18HadamardParamsBase
    .private_segment_fixed_size: 0
    .sgpr_count:     62
    .sgpr_spill_count: 0
    .symbol:         _Z30fast_hadamard_transform_kernelI37fast_hadamard_transform_kernel_traitsILi256ELi15E14__hip_bfloat16EEv18HadamardParamsBase.kd
    .uniform_work_group_size: 1
    .uses_dynamic_stack: false
    .vgpr_count:     288
    .vgpr_spill_count: 0
    .wavefront_size: 64
amdhsa.target:   amdgcn-amd-amdhsa--gfx950
amdhsa.version:
  - 1
  - 2
...

	.end_amdgpu_metadata
